;; amdgpu-corpus repo=ROCm/rocFFT kind=compiled arch=gfx950 opt=O3
	.text
	.amdgcn_target "amdgcn-amd-amdhsa--gfx950"
	.amdhsa_code_object_version 6
	.protected	fft_rtc_fwd_len1512_factors_2_2_2_3_3_3_7_wgs_63_tpt_63_halfLds_sp_ip_CI_sbrr_dirReg ; -- Begin function fft_rtc_fwd_len1512_factors_2_2_2_3_3_3_7_wgs_63_tpt_63_halfLds_sp_ip_CI_sbrr_dirReg
	.globl	fft_rtc_fwd_len1512_factors_2_2_2_3_3_3_7_wgs_63_tpt_63_halfLds_sp_ip_CI_sbrr_dirReg
	.p2align	8
	.type	fft_rtc_fwd_len1512_factors_2_2_2_3_3_3_7_wgs_63_tpt_63_halfLds_sp_ip_CI_sbrr_dirReg,@function
fft_rtc_fwd_len1512_factors_2_2_2_3_3_3_7_wgs_63_tpt_63_halfLds_sp_ip_CI_sbrr_dirReg: ; @fft_rtc_fwd_len1512_factors_2_2_2_3_3_3_7_wgs_63_tpt_63_halfLds_sp_ip_CI_sbrr_dirReg
; %bb.0:
	s_load_dwordx2 s[12:13], s[0:1], 0x18
	s_load_dwordx4 s[4:7], s[0:1], 0x0
	s_load_dwordx2 s[10:11], s[0:1], 0x50
	v_mul_u32_u24_e32 v1, 0x411, v0
	v_add_u32_sdwa v6, s2, v1 dst_sel:DWORD dst_unused:UNUSED_PAD src0_sel:DWORD src1_sel:WORD_1
	s_waitcnt lgkmcnt(0)
	s_load_dwordx2 s[8:9], s[12:13], 0x0
	v_mov_b32_e32 v4, 0
	v_cmp_lt_u64_e64 s[2:3], s[6:7], 2
	v_mov_b32_e32 v7, v4
	s_and_b64 vcc, exec, s[2:3]
	v_mov_b64_e32 v[2:3], 0
	s_cbranch_vccnz .LBB0_8
; %bb.1:
	s_load_dwordx2 s[2:3], s[0:1], 0x10
	s_add_u32 s14, s12, 8
	s_addc_u32 s15, s13, 0
	s_mov_b64 s[16:17], 1
	v_mov_b64_e32 v[2:3], 0
	s_waitcnt lgkmcnt(0)
	s_add_u32 s18, s2, 8
	s_addc_u32 s19, s3, 0
.LBB0_2:                                ; =>This Inner Loop Header: Depth=1
	s_load_dwordx2 s[20:21], s[18:19], 0x0
                                        ; implicit-def: $vgpr8_vgpr9
	s_waitcnt lgkmcnt(0)
	v_or_b32_e32 v5, s21, v7
	v_cmp_ne_u64_e32 vcc, 0, v[4:5]
	s_and_saveexec_b64 s[2:3], vcc
	s_xor_b64 s[22:23], exec, s[2:3]
	s_cbranch_execz .LBB0_4
; %bb.3:                                ;   in Loop: Header=BB0_2 Depth=1
	v_cvt_f32_u32_e32 v1, s20
	v_cvt_f32_u32_e32 v5, s21
	s_sub_u32 s2, 0, s20
	s_subb_u32 s3, 0, s21
	v_fmac_f32_e32 v1, 0x4f800000, v5
	v_rcp_f32_e32 v1, v1
	s_nop 0
	v_mul_f32_e32 v1, 0x5f7ffffc, v1
	v_mul_f32_e32 v5, 0x2f800000, v1
	v_trunc_f32_e32 v5, v5
	v_fmac_f32_e32 v1, 0xcf800000, v5
	v_cvt_u32_f32_e32 v5, v5
	v_cvt_u32_f32_e32 v1, v1
	v_mul_lo_u32 v8, s2, v5
	v_mul_hi_u32 v10, s2, v1
	v_mul_lo_u32 v9, s3, v1
	v_add_u32_e32 v10, v10, v8
	v_mul_lo_u32 v12, s2, v1
	v_add_u32_e32 v13, v10, v9
	v_mul_hi_u32 v8, v1, v12
	v_mul_hi_u32 v11, v1, v13
	v_mul_lo_u32 v10, v1, v13
	v_mov_b32_e32 v9, v4
	v_lshl_add_u64 v[8:9], v[8:9], 0, v[10:11]
	v_mul_hi_u32 v11, v5, v12
	v_mul_lo_u32 v12, v5, v12
	v_add_co_u32_e32 v8, vcc, v8, v12
	v_mul_hi_u32 v10, v5, v13
	s_nop 0
	v_addc_co_u32_e32 v8, vcc, v9, v11, vcc
	v_mov_b32_e32 v9, v4
	s_nop 0
	v_addc_co_u32_e32 v11, vcc, 0, v10, vcc
	v_mul_lo_u32 v10, v5, v13
	v_lshl_add_u64 v[8:9], v[8:9], 0, v[10:11]
	v_add_co_u32_e32 v1, vcc, v1, v8
	v_mul_lo_u32 v10, s2, v1
	s_nop 0
	v_addc_co_u32_e32 v5, vcc, v5, v9, vcc
	v_mul_lo_u32 v8, s2, v5
	v_mul_hi_u32 v9, s2, v1
	v_add_u32_e32 v8, v9, v8
	v_mul_lo_u32 v9, s3, v1
	v_add_u32_e32 v12, v8, v9
	v_mul_hi_u32 v14, v5, v10
	v_mul_lo_u32 v15, v5, v10
	v_mul_hi_u32 v9, v1, v12
	v_mul_lo_u32 v8, v1, v12
	v_mul_hi_u32 v10, v1, v10
	v_mov_b32_e32 v11, v4
	v_lshl_add_u64 v[8:9], v[10:11], 0, v[8:9]
	v_add_co_u32_e32 v8, vcc, v8, v15
	v_mul_hi_u32 v13, v5, v12
	s_nop 0
	v_addc_co_u32_e32 v8, vcc, v9, v14, vcc
	v_mul_lo_u32 v10, v5, v12
	s_nop 0
	v_addc_co_u32_e32 v11, vcc, 0, v13, vcc
	v_mov_b32_e32 v9, v4
	v_lshl_add_u64 v[8:9], v[8:9], 0, v[10:11]
	v_add_co_u32_e32 v1, vcc, v1, v8
	v_mul_hi_u32 v10, v6, v1
	s_nop 0
	v_addc_co_u32_e32 v5, vcc, v5, v9, vcc
	v_mad_u64_u32 v[8:9], s[2:3], v6, v5, 0
	v_mov_b32_e32 v11, v4
	v_lshl_add_u64 v[8:9], v[10:11], 0, v[8:9]
	v_mad_u64_u32 v[12:13], s[2:3], v7, v1, 0
	v_add_co_u32_e32 v1, vcc, v8, v12
	v_mad_u64_u32 v[10:11], s[2:3], v7, v5, 0
	s_nop 0
	v_addc_co_u32_e32 v8, vcc, v9, v13, vcc
	v_mov_b32_e32 v9, v4
	s_nop 0
	v_addc_co_u32_e32 v11, vcc, 0, v11, vcc
	v_lshl_add_u64 v[8:9], v[8:9], 0, v[10:11]
	v_mul_lo_u32 v1, s21, v8
	v_mul_lo_u32 v5, s20, v9
	v_mad_u64_u32 v[10:11], s[2:3], s20, v8, 0
	v_add3_u32 v1, v11, v5, v1
	v_sub_u32_e32 v5, v7, v1
	v_mov_b32_e32 v11, s21
	v_sub_co_u32_e32 v14, vcc, v6, v10
	v_lshl_add_u64 v[12:13], v[8:9], 0, 1
	s_nop 0
	v_subb_co_u32_e64 v5, s[2:3], v5, v11, vcc
	v_subrev_co_u32_e64 v10, s[2:3], s20, v14
	v_subb_co_u32_e32 v1, vcc, v7, v1, vcc
	s_nop 0
	v_subbrev_co_u32_e64 v5, s[2:3], 0, v5, s[2:3]
	v_cmp_le_u32_e64 s[2:3], s21, v5
	v_cmp_le_u32_e32 vcc, s21, v1
	s_nop 0
	v_cndmask_b32_e64 v11, 0, -1, s[2:3]
	v_cmp_le_u32_e64 s[2:3], s20, v10
	s_nop 1
	v_cndmask_b32_e64 v10, 0, -1, s[2:3]
	v_cmp_eq_u32_e64 s[2:3], s21, v5
	s_nop 1
	v_cndmask_b32_e64 v5, v11, v10, s[2:3]
	v_lshl_add_u64 v[10:11], v[8:9], 0, 2
	v_cmp_ne_u32_e64 s[2:3], 0, v5
	s_nop 1
	v_cndmask_b32_e64 v5, v13, v11, s[2:3]
	v_cndmask_b32_e64 v11, 0, -1, vcc
	v_cmp_le_u32_e32 vcc, s20, v14
	s_nop 1
	v_cndmask_b32_e64 v13, 0, -1, vcc
	v_cmp_eq_u32_e32 vcc, s21, v1
	s_nop 1
	v_cndmask_b32_e32 v1, v11, v13, vcc
	v_cmp_ne_u32_e32 vcc, 0, v1
	v_cndmask_b32_e64 v1, v12, v10, s[2:3]
	s_nop 0
	v_cndmask_b32_e32 v9, v9, v5, vcc
	v_cndmask_b32_e32 v8, v8, v1, vcc
.LBB0_4:                                ;   in Loop: Header=BB0_2 Depth=1
	s_andn2_saveexec_b64 s[2:3], s[22:23]
	s_cbranch_execz .LBB0_6
; %bb.5:                                ;   in Loop: Header=BB0_2 Depth=1
	v_cvt_f32_u32_e32 v1, s20
	s_sub_i32 s22, 0, s20
	v_rcp_iflag_f32_e32 v1, v1
	s_nop 0
	v_mul_f32_e32 v1, 0x4f7ffffe, v1
	v_cvt_u32_f32_e32 v1, v1
	v_mul_lo_u32 v5, s22, v1
	v_mul_hi_u32 v5, v1, v5
	v_add_u32_e32 v1, v1, v5
	v_mul_hi_u32 v1, v6, v1
	v_mul_lo_u32 v5, v1, s20
	v_sub_u32_e32 v5, v6, v5
	v_add_u32_e32 v8, 1, v1
	v_subrev_u32_e32 v9, s20, v5
	v_cmp_le_u32_e32 vcc, s20, v5
	s_nop 1
	v_cndmask_b32_e32 v5, v5, v9, vcc
	v_cndmask_b32_e32 v1, v1, v8, vcc
	v_add_u32_e32 v8, 1, v1
	v_cmp_le_u32_e32 vcc, s20, v5
	v_mov_b32_e32 v9, v4
	s_nop 0
	v_cndmask_b32_e32 v8, v1, v8, vcc
.LBB0_6:                                ;   in Loop: Header=BB0_2 Depth=1
	s_or_b64 exec, exec, s[2:3]
	v_mad_u64_u32 v[10:11], s[2:3], v8, s20, 0
	s_load_dwordx2 s[2:3], s[14:15], 0x0
	v_mul_lo_u32 v1, v9, s20
	v_mul_lo_u32 v5, v8, s21
	v_add3_u32 v1, v11, v5, v1
	v_sub_co_u32_e32 v5, vcc, v6, v10
	s_add_u32 s16, s16, 1
	s_nop 0
	v_subb_co_u32_e32 v1, vcc, v7, v1, vcc
	s_addc_u32 s17, s17, 0
	s_waitcnt lgkmcnt(0)
	v_mul_lo_u32 v1, s2, v1
	v_mul_lo_u32 v6, s3, v5
	v_mad_u64_u32 v[2:3], s[2:3], s2, v5, v[2:3]
	s_add_u32 s14, s14, 8
	v_add3_u32 v3, v6, v3, v1
	s_addc_u32 s15, s15, 0
	v_mov_b64_e32 v[6:7], s[6:7]
	s_add_u32 s18, s18, 8
	v_cmp_ge_u64_e32 vcc, s[16:17], v[6:7]
	s_addc_u32 s19, s19, 0
	s_cbranch_vccnz .LBB0_9
; %bb.7:                                ;   in Loop: Header=BB0_2 Depth=1
	v_mov_b64_e32 v[6:7], v[8:9]
	s_branch .LBB0_2
.LBB0_8:
	v_mov_b64_e32 v[8:9], v[6:7]
.LBB0_9:
	s_lshl_b64 s[2:3], s[6:7], 3
	s_add_u32 s2, s12, s2
	s_addc_u32 s3, s13, s3
	s_load_dwordx2 s[6:7], s[2:3], 0x0
	s_load_dwordx2 s[12:13], s[0:1], 0x20
	s_mov_b32 s2, 0x4104105
                                        ; implicit-def: $vgpr94
                                        ; implicit-def: $vgpr78
                                        ; implicit-def: $vgpr101
                                        ; implicit-def: $vgpr57
                                        ; implicit-def: $vgpr56
                                        ; implicit-def: $vgpr54
                                        ; implicit-def: $vgpr55
	s_waitcnt lgkmcnt(0)
	v_mul_lo_u32 v1, s6, v9
	v_mul_lo_u32 v4, s7, v8
	v_mad_u64_u32 v[6:7], s[0:1], s6, v8, v[2:3]
	v_add3_u32 v7, v4, v7, v1
	v_mul_hi_u32 v1, v0, s2
	v_mul_u32_u24_e32 v1, 63, v1
	v_sub_u32_e32 v100, v0, v1
	v_cmp_gt_u64_e32 vcc, s[12:13], v[8:9]
	v_cmp_le_u64_e64 s[0:1], s[12:13], v[8:9]
	v_add_u32_e32 v74, 63, v100
                                        ; implicit-def: $vgpr2_vgpr3
                                        ; implicit-def: $vgpr0_vgpr1
                                        ; implicit-def: $sgpr2_sgpr3
	s_and_saveexec_b64 s[6:7], s[0:1]
	s_xor_b64 s[0:1], exec, s[6:7]
	s_cbranch_execz .LBB0_11
; %bb.10:
	v_add_u32_e32 v94, 63, v100
	v_add_u32_e32 v78, 0x7e, v100
	v_add_u32_e32 v101, 0xbd, v100
	v_add_u32_e32 v1, 0x13b, v100
	v_add_u32_e32 v0, 0xfc, v100
	v_add_u32_e32 v3, 0x1b9, v100
	v_add_u32_e32 v2, 0x17a, v100
	v_add_u32_e32 v57, 0x1f8, v100
	v_add_u32_e32 v56, 0x237, v100
	v_add_u32_e32 v54, 0x276, v100
	v_add_u32_e32 v55, 0x2b5, v100
	s_mov_b64 s[2:3], 0
.LBB0_11:
	s_or_saveexec_b64 s[0:1], s[0:1]
	v_mov_b64_e32 v[4:5], s[2:3]
	v_lshl_add_u64 v[24:25], v[6:7], 3, s[10:11]
	v_mov_b64_e32 v[6:7], s[2:3]
	v_mov_b64_e32 v[10:11], s[2:3]
	;; [unrolled: 1-line block ×11, first 2 shown]
                                        ; implicit-def: $vgpr28
                                        ; implicit-def: $vgpr30
                                        ; implicit-def: $vgpr36
                                        ; implicit-def: $vgpr34
                                        ; implicit-def: $vgpr40
                                        ; implicit-def: $vgpr52
                                        ; implicit-def: $vgpr50
                                        ; implicit-def: $vgpr46
                                        ; implicit-def: $vgpr48
                                        ; implicit-def: $vgpr44
                                        ; implicit-def: $vgpr38
                                        ; implicit-def: $vgpr32
	s_xor_b64 exec, exec, s[0:1]
	s_cbranch_execz .LBB0_13
; %bb.12:
	v_mad_u64_u32 v[4:5], s[2:3], s8, v100, 0
	v_mov_b32_e32 v0, v5
	v_mad_u64_u32 v[0:1], s[2:3], s9, v100, v[0:1]
	v_add_u32_e32 v1, 0x2f4, v100
	v_mad_u64_u32 v[6:7], s[2:3], s8, v1, 0
	v_mov_b32_e32 v5, v0
	v_mov_b32_e32 v0, v7
	v_mad_u64_u32 v[0:1], s[2:3], s9, v1, v[0:1]
	v_mad_u64_u32 v[8:9], s[2:3], s8, v74, 0
	v_mov_b32_e32 v7, v0
	v_mov_b32_e32 v0, v9
	v_mad_u64_u32 v[0:1], s[2:3], s9, v74, v[0:1]
	v_add_u32_e32 v1, 0x333, v100
	v_mad_u64_u32 v[10:11], s[2:3], s8, v1, 0
	v_mov_b32_e32 v9, v0
	v_mov_b32_e32 v0, v11
	v_add_u32_e32 v78, 0x7e, v100
	v_mad_u64_u32 v[0:1], s[2:3], s9, v1, v[0:1]
	v_mad_u64_u32 v[12:13], s[2:3], s8, v78, 0
	v_mov_b32_e32 v11, v0
	v_mov_b32_e32 v0, v13
	v_mad_u64_u32 v[0:1], s[2:3], s9, v78, v[0:1]
	v_add_u32_e32 v1, 0x372, v100
	v_mad_u64_u32 v[14:15], s[2:3], s8, v1, 0
	v_mov_b32_e32 v13, v0
	v_mov_b32_e32 v0, v15
	v_add_u32_e32 v101, 0xbd, v100
	v_mad_u64_u32 v[0:1], s[2:3], s9, v1, v[0:1]
	v_mad_u64_u32 v[16:17], s[2:3], s8, v101, 0
	v_mov_b32_e32 v15, v0
	v_mov_b32_e32 v0, v17
	v_mad_u64_u32 v[0:1], s[2:3], s9, v101, v[0:1]
	v_add_u32_e32 v1, 0x3b1, v100
	v_mad_u64_u32 v[18:19], s[2:3], s8, v1, 0
	v_mov_b32_e32 v17, v0
	v_mov_b32_e32 v0, v19
	v_mad_u64_u32 v[0:1], s[2:3], s9, v1, v[0:1]
	v_mov_b32_e32 v19, v0
	v_add_u32_e32 v0, 0xfc, v100
	v_mad_u64_u32 v[20:21], s[2:3], s8, v0, 0
	v_mov_b32_e32 v2, v21
	v_mad_u64_u32 v[2:3], s[2:3], s9, v0, v[2:3]
	v_add_u32_e32 v3, 0x3f0, v100
	v_mad_u64_u32 v[22:23], s[2:3], s8, v3, 0
	v_add_u32_e32 v1, 0x13b, v100
	v_mov_b32_e32 v21, v2
	v_mov_b32_e32 v2, v23
	v_mad_u64_u32 v[2:3], s[2:3], s9, v3, v[2:3]
	v_mad_u64_u32 v[26:27], s[2:3], s8, v1, 0
	v_mov_b32_e32 v23, v2
	v_mov_b32_e32 v2, v27
	v_mad_u64_u32 v[2:3], s[2:3], s9, v1, v[2:3]
	v_add_u32_e32 v3, 0x42f, v100
	v_mad_u64_u32 v[34:35], s[2:3], s8, v3, 0
	v_mov_b32_e32 v27, v2
	v_mov_b32_e32 v2, v35
	v_mad_u64_u32 v[2:3], s[2:3], s9, v3, v[2:3]
	v_mov_b32_e32 v35, v2
	v_add_u32_e32 v2, 0x17a, v100
	v_mad_u64_u32 v[40:41], s[2:3], s8, v2, 0
	v_mov_b32_e32 v28, v41
	v_mad_u64_u32 v[28:29], s[2:3], s9, v2, v[28:29]
	v_add_u32_e32 v29, 0x46e, v100
	v_mad_u64_u32 v[42:43], s[2:3], s8, v29, 0
	v_add_u32_e32 v3, 0x1b9, v100
	v_mov_b32_e32 v41, v28
	v_mov_b32_e32 v28, v43
	v_mad_u64_u32 v[28:29], s[2:3], s9, v29, v[28:29]
	v_mad_u64_u32 v[44:45], s[2:3], s8, v3, 0
	v_mov_b32_e32 v43, v28
	v_mov_b32_e32 v28, v45
	v_mad_u64_u32 v[28:29], s[2:3], s9, v3, v[28:29]
	v_add_u32_e32 v29, 0x4ad, v100
	v_mad_u64_u32 v[46:47], s[2:3], s8, v29, 0
	v_mov_b32_e32 v45, v28
	v_mov_b32_e32 v28, v47
	v_add_u32_e32 v57, 0x1f8, v100
	v_mad_u64_u32 v[28:29], s[2:3], s9, v29, v[28:29]
	v_mad_u64_u32 v[48:49], s[2:3], s8, v57, 0
	v_mov_b32_e32 v47, v28
	v_mov_b32_e32 v28, v49
	v_mad_u64_u32 v[28:29], s[2:3], s9, v57, v[28:29]
	v_add_u32_e32 v29, 0x4ec, v100
	v_mad_u64_u32 v[50:51], s[2:3], s8, v29, 0
	v_mov_b32_e32 v49, v28
	v_mov_b32_e32 v28, v51
	v_add_u32_e32 v56, 0x237, v100
	;; [unrolled: 10-line block ×4, first 2 shown]
	v_mad_u64_u32 v[28:29], s[2:3], s9, v29, v[28:29]
	v_mad_u64_u32 v[64:65], s[2:3], s8, v55, 0
	v_mov_b32_e32 v63, v28
	v_mov_b32_e32 v28, v65
	v_mad_u64_u32 v[28:29], s[2:3], s9, v55, v[28:29]
	v_add_u32_e32 v29, 0x5a9, v100
	v_mad_u64_u32 v[66:67], s[2:3], s8, v29, 0
	v_mov_b32_e32 v65, v28
	v_mov_b32_e32 v28, v67
	v_mad_u64_u32 v[28:29], s[2:3], s9, v29, v[28:29]
	v_lshl_add_u64 v[30:31], v[4:5], 3, v[24:25]
	v_lshl_add_u64 v[8:9], v[8:9], 3, v[24:25]
	;; [unrolled: 1-line block ×6, first 2 shown]
	v_mov_b32_e32 v67, v28
	v_lshl_add_u64 v[36:37], v[6:7], 3, v[24:25]
	global_load_dwordx2 v[4:5], v[30:31], off
	global_load_dwordx2 v[28:29], v[36:37], off
	;; [unrolled: 1-line block ×4, first 2 shown]
	v_lshl_add_u64 v[14:15], v[14:15], 3, v[24:25]
	global_load_dwordx2 v[10:11], v[12:13], off
	global_load_dwordx2 v[38:39], v[14:15], off
	global_load_dwordx2 v[8:9], v[16:17], off
	global_load_dwordx2 v[30:31], v[18:19], off
	v_lshl_add_u64 v[16:17], v[20:21], 3, v[24:25]
	v_lshl_add_u64 v[18:19], v[22:23], 3, v[24:25]
	v_lshl_add_u64 v[20:21], v[26:27], 3, v[24:25]
	v_lshl_add_u64 v[22:23], v[34:35], 3, v[24:25]
	global_load_dwordx2 v[14:15], v[16:17], off
	global_load_dwordx2 v[36:37], v[18:19], off
	global_load_dwordx2 v[12:13], v[20:21], off
	global_load_dwordx2 v[34:35], v[22:23], off
	v_lshl_add_u64 v[20:21], v[40:41], 3, v[24:25]
	v_lshl_add_u64 v[22:23], v[42:43], 3, v[24:25]
	v_lshl_add_u64 v[26:27], v[44:45], 3, v[24:25]
	;; [unrolled: 8-line block ×3, first 2 shown]
	v_lshl_add_u64 v[52:53], v[58:59], 3, v[24:25]
	v_lshl_add_u64 v[58:59], v[60:61], 3, v[24:25]
	global_load_dwordx2 v[22:23], v[26:27], off
	global_load_dwordx2 v[48:49], v[42:43], off
	;; [unrolled: 1-line block ×4, first 2 shown]
	v_lshl_add_u64 v[60:61], v[62:63], 3, v[24:25]
	v_lshl_add_u64 v[62:63], v[64:65], 3, v[24:25]
	v_lshl_add_u64 v[64:65], v[66:67], 3, v[24:25]
	global_load_dwordx2 v[26:27], v[58:59], off
	global_load_dwordx2 v[52:53], v[60:61], off
	;; [unrolled: 1-line block ×4, first 2 shown]
	v_mov_b32_e32 v94, v74
.LBB0_13:
	s_or_b64 exec, exec, s[0:1]
	s_waitcnt vmcnt(22)
	v_sub_f32_e32 v61, v5, v29
	v_sub_f32_e32 v59, v4, v28
	v_fma_f32 v60, v5, 2.0, -v61
	s_waitcnt vmcnt(20)
	v_sub_f32_e32 v5, v6, v32
	v_sub_f32_e32 v63, v7, v33
	s_waitcnt vmcnt(18)
	v_sub_f32_e32 v39, v11, v39
	v_fma_f32 v58, v4, 2.0, -v59
	v_fma_f32 v4, v6, 2.0, -v5
	;; [unrolled: 1-line block ×3, first 2 shown]
	v_sub_f32_e32 v7, v10, v38
	v_fma_f32 v38, v11, 2.0, -v39
	s_waitcnt vmcnt(16)
	v_sub_f32_e32 v11, v8, v30
	v_sub_f32_e32 v65, v9, v31
	s_waitcnt vmcnt(12)
	v_sub_f32_e32 v69, v13, v35
	s_waitcnt vmcnt(10)
	v_sub_f32_e32 v45, v19, v45
	s_waitcnt vmcnt(8)
	v_sub_f32_e32 v41, v17, v41
	s_waitcnt vmcnt(6)
	v_sub_f32_e32 v49, v23, v49
	v_lshl_add_u32 v70, v100, 3, 0
	v_lshl_add_u32 v71, v94, 3, 0
	v_fma_f32 v6, v10, 2.0, -v7
	v_fma_f32 v10, v8, 2.0, -v11
	;; [unrolled: 1-line block ×3, first 2 shown]
	v_sub_f32_e32 v9, v14, v36
	v_sub_f32_e32 v67, v15, v37
	v_fma_f32 v68, v13, 2.0, -v69
	v_sub_f32_e32 v13, v18, v44
	v_fma_f32 v44, v19, 2.0, -v45
	;; [unrolled: 2-line block ×4, first 2 shown]
	s_waitcnt vmcnt(4)
	v_sub_f32_e32 v47, v21, v47
	s_waitcnt vmcnt(2)
	v_sub_f32_e32 v53, v27, v53
	ds_write_b64 v70, v[58:59]
	ds_write_b64 v71, v[4:5]
	v_lshl_add_u32 v4, v78, 3, 0
	v_lshl_add_u32 v23, v101, 3, 0
	v_fma_f32 v8, v14, 2.0, -v9
	v_fma_f32 v66, v15, 2.0, -v67
	v_sub_f32_e32 v15, v12, v34
	v_sub_f32_e32 v29, v20, v46
	v_fma_f32 v46, v21, 2.0, -v47
	v_sub_f32_e32 v21, v26, v52
	v_fma_f32 v52, v27, 2.0, -v53
	s_waitcnt vmcnt(0)
	v_sub_f32_e32 v27, v42, v50
	ds_write_b64 v4, v[6:7]
	ds_write_b64 v23, v[10:11]
	v_lshl_add_u32 v10, v0, 3, 0
	v_fma_f32 v14, v12, 2.0, -v15
	v_fma_f32 v12, v18, 2.0, -v13
	;; [unrolled: 1-line block ×7, first 2 shown]
	ds_write_b64 v10, v[8:9]
	v_lshl_add_u32 v9, v1, 3, 0
	v_lshl_add_u32 v11, v2, 3, 0
	;; [unrolled: 1-line block ×7, first 2 shown]
	v_lshlrev_b32_e32 v5, 2, v0
	ds_write_b64 v9, v[14:15]
	ds_write_b64 v11, v[12:13]
	;; [unrolled: 1-line block ×7, first 2 shown]
	v_sub_u32_e32 v27, v10, v5
	v_lshlrev_b32_e32 v5, 2, v1
	v_sub_u32_e32 v28, v9, v5
	v_lshlrev_b32_e32 v5, 2, v2
	;; [unrolled: 2-line block ×4, first 2 shown]
	v_lshl_add_u32 v20, v100, 2, 0
	v_sub_u32_e32 v37, v73, v5
	v_lshlrev_b32_e32 v5, 2, v56
	v_sub_f32_e32 v51, v43, v51
	v_add_u32_e32 v32, 0xa00, v20
	v_lshl_add_u32 v22, v94, 2, 0
	v_add_u32_e32 v33, 0xc00, v20
	v_lshlrev_b32_e32 v29, 2, v101
	v_add_u32_e32 v35, 0xe00, v20
	v_add_u32_e32 v34, 0x1000, v20
	;; [unrolled: 1-line block ×3, first 2 shown]
	v_sub_u32_e32 v5, v75, v5
	v_lshlrev_b32_e32 v6, 2, v54
	v_add_u32_e32 v36, 0x1400, v20
	v_lshlrev_b32_e32 v7, 2, v55
	v_fma_f32 v50, v43, 2.0, -v51
	s_waitcnt lgkmcnt(0)
	; wave barrier
	s_waitcnt lgkmcnt(0)
	ds_read2_b32 v[12:13], v32 offset0:116 offset1:179
	v_lshl_add_u32 v21, v78, 2, 0
	ds_read2_b32 v[14:15], v33 offset0:114 offset1:177
	v_sub_u32_e32 v26, v23, v29
	ds_read2_b32 v[16:17], v35 offset0:112 offset1:175
	ds_read2_b32 v[18:19], v34 offset0:110 offset1:173
	ds_read_b32 v79, v22
	ds_read_b32 v80, v21
	;; [unrolled: 1-line block ×8, first 2 shown]
	ds_read2_b32 v[42:43], v8 offset0:108 offset1:171
	v_sub_u32_e32 v6, v76, v6
	ds_read_b32 v87, v5
	ds_read_b32 v88, v6
	ds_read2_b32 v[58:59], v36 offset0:106 offset1:169
	v_sub_u32_e32 v7, v77, v7
	ds_read_b32 v89, v20
	ds_read_b32 v90, v7
	s_waitcnt lgkmcnt(0)
	; wave barrier
	s_waitcnt lgkmcnt(0)
	ds_write_b64 v70, v[60:61]
	ds_write_b64 v71, v[62:63]
	;; [unrolled: 1-line block ×12, first 2 shown]
	v_and_b32_e32 v11, 1, v100
	v_lshlrev_b32_e32 v4, 3, v11
	v_and_b32_e32 v66, 1, v94
	s_waitcnt lgkmcnt(0)
	; wave barrier
	s_waitcnt lgkmcnt(0)
	global_load_dwordx2 v[38:39], v4, s[4:5]
	v_lshlrev_b32_e32 v4, 3, v66
	global_load_dwordx2 v[40:41], v4, s[4:5]
	v_and_b32_e32 v67, 1, v101
	v_lshlrev_b32_e32 v4, 3, v67
	global_load_dwordx2 v[44:45], v4, s[4:5]
	v_and_b32_e32 v68, 1, v1
	v_lshlrev_b32_e32 v4, 3, v68
	v_and_b32_e32 v69, 1, v3
	global_load_dwordx2 v[46:47], v4, s[4:5]
	v_lshlrev_b32_e32 v4, 3, v69
	global_load_dwordx2 v[48:49], v4, s[4:5]
	v_and_b32_e32 v70, 1, v56
	v_lshlrev_b32_e32 v4, 3, v70
	global_load_dwordx2 v[50:51], v4, s[4:5]
	v_and_b32_e32 v71, 1, v55
	v_lshlrev_b32_e32 v4, 3, v71
	global_load_dwordx2 v[52:53], v4, s[4:5]
	ds_read2_b32 v[60:61], v32 offset0:116 offset1:179
	ds_read_b32 v72, v20
	ds_read2_b32 v[62:63], v33 offset0:114 offset1:177
	ds_read2_b32 v[64:65], v35 offset0:112 offset1:175
	v_lshlrev_b32_e32 v4, 1, v100
	s_movk_i32 s0, 0x7c
	v_lshlrev_b32_e32 v10, 1, v94
	v_lshlrev_b32_e32 v9, 1, v78
	;; [unrolled: 1-line block ×4, first 2 shown]
	s_movk_i32 s1, 0x2fc
	v_lshlrev_b32_e32 v97, 1, v3
	v_cmp_lt_u32_e64 s[2:3], 26, v100
	s_waitcnt vmcnt(6) lgkmcnt(3)
	v_mul_f32_e32 v73, v60, v39
	v_fma_f32 v73, v12, v38, -v73
	v_mul_f32_e32 v75, v12, v39
	s_waitcnt vmcnt(5)
	v_mul_f32_e32 v12, v61, v41
	v_mul_f32_e32 v77, v13, v41
	v_fma_f32 v76, v13, v40, -v12
	v_fmac_f32_e32 v77, v61, v40
	s_waitcnt lgkmcnt(1)
	v_mul_f32_e32 v40, v62, v39
	ds_read2_b32 v[12:13], v34 offset0:110 offset1:173
	v_fmac_f32_e32 v75, v60, v38
	v_fma_f32 v40, v14, v38, -v40
	v_mul_f32_e32 v60, v14, v39
	s_waitcnt vmcnt(4)
	v_mul_f32_e32 v14, v63, v45
	v_fma_f32 v41, v15, v44, -v14
	v_mul_f32_e32 v45, v15, v45
	ds_read2_b32 v[14:15], v8 offset0:108 offset1:171
	v_fmac_f32_e32 v45, v63, v44
	s_waitcnt lgkmcnt(2)
	v_mul_f32_e32 v44, v64, v39
	v_fma_f32 v44, v16, v38, -v44
	v_mul_f32_e32 v61, v16, v39
	s_waitcnt vmcnt(3)
	v_mul_f32_e32 v16, v65, v47
	v_mul_f32_e32 v47, v17, v47
	;; [unrolled: 1-line block ×3, first 2 shown]
	v_fmac_f32_e32 v60, v62, v38
	v_fma_f32 v62, v17, v46, -v16
	v_fmac_f32_e32 v47, v65, v46
	s_waitcnt lgkmcnt(1)
	v_mul_f32_e32 v46, v12, v39
	v_fmac_f32_e32 v63, v12, v38
	s_waitcnt vmcnt(2)
	v_mul_f32_e32 v12, v13, v49
	v_mul_f32_e32 v49, v19, v49
	ds_read2_b32 v[16:17], v36 offset0:106 offset1:169
	v_fmac_f32_e32 v49, v13, v48
	s_waitcnt lgkmcnt(1)
	v_mul_f32_e32 v13, v14, v39
	v_fma_f32 v13, v42, v38, -v13
	v_mul_f32_e32 v42, v42, v39
	v_fmac_f32_e32 v42, v14, v38
	s_waitcnt vmcnt(1)
	v_mul_f32_e32 v14, v15, v51
	v_fma_f32 v14, v43, v50, -v14
	v_mul_f32_e32 v43, v43, v51
	v_fma_f32 v12, v19, v48, -v12
	v_fmac_f32_e32 v43, v15, v50
	v_mul_f32_e32 v48, v58, v39
	s_waitcnt vmcnt(0)
	v_mul_f32_e32 v50, v59, v53
	s_waitcnt lgkmcnt(0)
	v_mul_f32_e32 v15, v16, v39
	v_fmac_f32_e32 v48, v16, v38
	v_mul_f32_e32 v16, v17, v53
	v_fmac_f32_e32 v50, v17, v52
	v_sub_f32_e32 v17, v89, v73
	v_and_or_b32 v19, v4, s0, v11
	v_fma_f32 v46, v18, v38, -v46
	v_fma_f32 v18, v89, 2.0, -v17
	v_lshl_add_u32 v73, v19, 2, 0
	s_movk_i32 s0, 0xfc
	v_fmac_f32_e32 v61, v64, v38
	v_fma_f32 v15, v58, v38, -v15
	v_fma_f32 v16, v59, v52, -v16
	ds_read_b32 v51, v22
	ds_read_b32 v53, v21
	;; [unrolled: 1-line block ×11, first 2 shown]
	s_waitcnt lgkmcnt(0)
	; wave barrier
	s_waitcnt lgkmcnt(0)
	ds_write2_b32 v73, v18, v17 offset1:2
	v_sub_f32_e32 v17, v79, v76
	v_and_or_b32 v19, v10, s0, v66
	v_fma_f32 v18, v79, 2.0, -v17
	v_lshl_add_u32 v66, v19, 2, 0
	s_movk_i32 s0, 0x1fc
	ds_write2_b32 v66, v18, v17 offset1:2
	v_sub_f32_e32 v17, v80, v40
	v_and_or_b32 v19, v9, s0, v11
	v_lshlrev_b32_e32 v89, 1, v101
	v_fma_f32 v18, v80, 2.0, -v17
	v_lshl_add_u32 v79, v19, 2, 0
	ds_write2_b32 v79, v18, v17 offset1:2
	v_sub_f32_e32 v17, v81, v41
	v_and_or_b32 v19, v89, s0, v67
	v_fma_f32 v18, v81, 2.0, -v17
	v_lshl_add_u32 v57, v19, 2, 0
	s_movk_i32 s0, 0x3fc
	ds_write2_b32 v57, v18, v17 offset1:2
	v_sub_f32_e32 v17, v82, v44
	v_and_or_b32 v19, v96, s0, v11
	v_lshlrev_b32_e32 v76, 1, v1
	v_fma_f32 v18, v82, 2.0, -v17
	v_lshl_add_u32 v44, v19, 2, 0
	ds_write2_b32 v44, v18, v17 offset1:2
	v_sub_f32_e32 v17, v83, v62
	v_and_or_b32 v68, v76, s1, v68
	v_lshlrev_b32_e32 v80, 1, v2
	v_fma_f32 v18, v83, 2.0, -v17
	v_lshl_add_u32 v68, v68, 2, 0
	ds_write2_b32 v68, v18, v17 offset1:2
	v_and_or_b32 v17, v80, s0, v11
	v_sub_f32_e32 v19, v84, v46
	v_sub_f32_e32 v12, v85, v12
	v_lshl_add_u32 v83, v17, 2, 0
	v_and_or_b32 v17, v97, s0, v69
	v_fma_f32 v38, v84, 2.0, -v19
	v_fma_f32 v39, v85, 2.0, -v12
	v_lshl_add_u32 v69, v17, 2, 0
	s_movk_i32 s0, 0x7fc
	v_lshlrev_b32_e32 v67, 1, v56
	ds_write2_b32 v83, v38, v19 offset1:2
	ds_write2_b32 v69, v39, v12 offset1:2
	v_and_or_b32 v12, v98, s0, v11
	s_movk_i32 s0, 0x4fc
	v_lshlrev_b32_e32 v81, 1, v54
	v_lshl_add_u32 v84, v12, 2, 0
	v_and_or_b32 v12, v67, s0, v70
	s_movk_i32 s0, 0x5fc
	v_lshlrev_b32_e32 v82, 1, v55
	v_sub_f32_e32 v13, v86, v13
	v_sub_f32_e32 v14, v87, v14
	;; [unrolled: 1-line block ×3, first 2 shown]
	v_and_or_b32 v11, v81, s0, v11
	v_fma_f32 v40, v86, 2.0, -v13
	v_fma_f32 v41, v87, 2.0, -v14
	v_fma_f32 v46, v88, 2.0, -v15
	v_sub_f32_e32 v16, v90, v16
	v_lshl_add_u32 v70, v12, 2, 0
	v_lshl_add_u32 v11, v11, 2, 0
	v_and_or_b32 v12, v82, s0, v71
	v_fma_f32 v62, v90, 2.0, -v16
	ds_write2_b32 v84, v40, v13 offset1:2
	ds_write2_b32 v70, v41, v14 offset1:2
	;; [unrolled: 1-line block ×3, first 2 shown]
	v_lshl_add_u32 v46, v12, 2, 0
	v_sub_f32_e32 v75, v72, v75
	ds_write2_b32 v46, v62, v16 offset1:2
	v_sub_f32_e32 v62, v51, v77
	v_fma_f32 v72, v72, 2.0, -v75
	v_fma_f32 v51, v51, 2.0, -v62
	s_waitcnt lgkmcnt(0)
	; wave barrier
	s_waitcnt lgkmcnt(0)
	ds_read_b32 v71, v22
	ds_read_b32 v85, v21
	;; [unrolled: 1-line block ×12, first 2 shown]
	ds_read2_b32 v[12:13], v32 offset0:116 offset1:179
	ds_read2_b32 v[14:15], v33 offset0:114 offset1:177
	;; [unrolled: 1-line block ×6, first 2 shown]
	s_waitcnt lgkmcnt(0)
	; wave barrier
	s_waitcnt lgkmcnt(0)
	ds_write2_b32 v73, v72, v75 offset1:2
	ds_write2_b32 v66, v51, v62 offset1:2
	v_sub_f32_e32 v51, v53, v60
	v_fma_f32 v53, v53, 2.0, -v51
	v_sub_f32_e32 v45, v58, v45
	ds_write2_b32 v79, v53, v51 offset1:2
	v_fma_f32 v51, v58, 2.0, -v45
	ds_write2_b32 v57, v51, v45 offset1:2
	v_sub_f32_e32 v45, v59, v61
	v_fma_f32 v51, v59, 2.0, -v45
	v_sub_f32_e32 v47, v64, v47
	v_sub_f32_e32 v57, v65, v63
	;; [unrolled: 1-line block ×7, first 2 shown]
	v_fma_f32 v53, v64, 2.0, -v47
	v_fma_f32 v58, v65, 2.0, -v57
	;; [unrolled: 1-line block ×7, first 2 shown]
	ds_write2_b32 v44, v51, v45 offset1:2
	ds_write2_b32 v68, v53, v47 offset1:2
	;; [unrolled: 1-line block ×8, first 2 shown]
	v_and_b32_e32 v11, 3, v78
	v_lshlrev_b32_e32 v42, 3, v11
	s_waitcnt lgkmcnt(0)
	; wave barrier
	s_waitcnt lgkmcnt(0)
	global_load_dwordx2 v[42:43], v42, s[4:5] offset:16
	v_and_b32_e32 v64, 3, v101
	v_lshlrev_b32_e32 v44, 3, v64
	global_load_dwordx2 v[44:45], v44, s[4:5] offset:16
	v_and_b32_e32 v65, 3, v94
	v_lshlrev_b32_e32 v46, 3, v65
	;; [unrolled: 3-line block ×9, first 2 shown]
	global_load_dwordx2 v[54:55], v54, s[4:5] offset:16
	ds_read2_b32 v[62:63], v33 offset0:114 offset1:177
	s_movk_i32 s0, 0x78
	s_movk_i32 s1, 0x2f8
	v_and_b32_e32 v91, 7, v2
	v_and_b32_e32 v92, 7, v100
	;; [unrolled: 1-line block ×3, first 2 shown]
	s_waitcnt vmcnt(9) lgkmcnt(0)
	v_mul_f32_e32 v77, v62, v43
	v_mul_f32_e32 v79, v14, v43
	v_fma_f32 v77, v14, v42, -v77
	v_fmac_f32_e32 v79, v62, v42
	ds_read2_b32 v[42:43], v32 offset0:116 offset1:179
	s_waitcnt vmcnt(8)
	v_mul_f32_e32 v14, v63, v45
	v_fma_f32 v62, v15, v44, -v14
	v_mul_f32_e32 v45, v15, v45
	v_fmac_f32_e32 v45, v63, v44
	s_waitcnt vmcnt(7) lgkmcnt(0)
	v_mul_f32_e32 v14, v43, v47
	v_fma_f32 v44, v13, v46, -v14
	ds_read2_b32 v[14:15], v35 offset0:112 offset1:175
	v_mul_f32_e32 v47, v13, v47
	s_waitcnt vmcnt(6)
	v_mul_f32_e32 v13, v42, v49
	v_fmac_f32_e32 v47, v43, v46
	v_fma_f32 v43, v12, v48, -v13
	v_mul_f32_e32 v46, v12, v49
	s_waitcnt vmcnt(5) lgkmcnt(0)
	v_mul_f32_e32 v12, v15, v51
	v_fmac_f32_e32 v46, v42, v48
	v_fma_f32 v42, v17, v50, -v12
	ds_read2_b32 v[12:13], v34 offset0:110 offset1:173
	v_mul_f32_e32 v17, v17, v51
	v_fmac_f32_e32 v17, v15, v50
	v_mul_f32_e32 v15, v14, v49
	v_fma_f32 v50, v16, v48, -v15
	v_mul_f32_e32 v16, v16, v49
	v_fmac_f32_e32 v16, v14, v48
	s_waitcnt vmcnt(4) lgkmcnt(0)
	v_mul_f32_e32 v14, v12, v53
	v_fma_f32 v51, v18, v52, -v14
	ds_read2_b32 v[14:15], v8 offset0:108 offset1:171
	v_mul_f32_e32 v18, v18, v53
	s_waitcnt vmcnt(3)
	v_mul_f32_e32 v8, v13, v59
	v_fmac_f32_e32 v18, v12, v52
	v_fma_f32 v8, v19, v58, -v8
	v_mul_f32_e32 v19, v19, v59
	s_waitcnt lgkmcnt(0)
	v_mul_f32_e32 v12, v14, v49
	v_fmac_f32_e32 v19, v13, v58
	v_fma_f32 v52, v38, v48, -v12
	ds_read2_b32 v[12:13], v36 offset0:106 offset1:169
	v_mul_f32_e32 v38, v38, v49
	v_fmac_f32_e32 v38, v14, v48
	s_waitcnt vmcnt(2)
	v_mul_f32_e32 v14, v15, v57
	v_fma_f32 v14, v39, v56, -v14
	v_mul_f32_e32 v39, v39, v57
	v_fmac_f32_e32 v39, v15, v56
	s_waitcnt vmcnt(1) lgkmcnt(0)
	v_mul_f32_e32 v15, v12, v61
	v_fma_f32 v15, v40, v60, -v15
	v_mul_f32_e32 v40, v40, v61
	v_fmac_f32_e32 v40, v12, v60
	ds_read_b32 v12, v20
	ds_read_b32 v5, v5
	;; [unrolled: 1-line block ×4, first 2 shown]
	s_waitcnt vmcnt(0)
	v_mul_f32_e32 v48, v13, v55
	v_fma_f32 v48, v41, v54, -v48
	v_mul_f32_e32 v41, v41, v55
	v_fmac_f32_e32 v41, v13, v54
	v_sub_f32_e32 v13, v105, v43
	v_and_or_b32 v60, v4, s0, v66
	v_fma_f32 v43, v105, 2.0, -v13
	v_lshl_add_u32 v83, v60, 2, 0
	s_movk_i32 s0, 0xf8
	ds_read_b32 v49, v22
	ds_read_b32 v53, v21
	;; [unrolled: 1-line block ×8, first 2 shown]
	s_waitcnt lgkmcnt(0)
	; wave barrier
	s_waitcnt lgkmcnt(0)
	ds_write2_b32 v83, v43, v13 offset1:4
	v_and_or_b32 v10, v10, s0, v65
	v_sub_f32_e32 v13, v71, v44
	v_sub_f32_e32 v60, v86, v62
	;; [unrolled: 1-line block ×3, first 2 shown]
	s_movk_i32 s0, 0x1f8
	v_fma_f32 v43, v71, 2.0, -v13
	v_lshl_add_u32 v10, v10, 2, 0
	v_fma_f32 v61, v86, 2.0, -v60
	v_fma_f32 v86, v7, 2.0, -v41
	v_and_or_b32 v7, v9, s0, v11
	ds_write2_b32 v10, v43, v13 offset1:4
	v_sub_f32_e32 v13, v12, v46
	v_sub_f32_e32 v43, v49, v47
	;; [unrolled: 1-line block ×3, first 2 shown]
	v_lshl_add_u32 v9, v7, 2, 0
	v_and_or_b32 v7, v89, s0, v64
	s_movk_i32 s0, 0x3f8
	v_fma_f32 v44, v49, 2.0, -v43
	v_fma_f32 v49, v85, 2.0, -v46
	v_lshl_add_u32 v11, v7, 2, 0
	v_and_or_b32 v7, v96, s0, v66
	v_sub_f32_e32 v50, v87, v50
	v_sub_f32_e32 v42, v88, v42
	ds_write2_b32 v9, v49, v46 offset1:4
	v_lshl_add_u32 v46, v7, 2, 0
	v_and_or_b32 v7, v76, s1, v68
	v_fma_f32 v62, v87, 2.0, -v50
	v_fma_f32 v63, v88, 2.0, -v42
	v_lshl_add_u32 v49, v7, 2, 0
	v_and_or_b32 v7, v80, s0, v69
	v_sub_f32_e32 v51, v90, v51
	v_sub_f32_e32 v8, v99, v8
	ds_write2_b32 v11, v61, v60 offset1:4
	ds_write2_b32 v46, v62, v50 offset1:4
	;; [unrolled: 1-line block ×3, first 2 shown]
	v_lshl_add_u32 v42, v7, 2, 0
	v_and_or_b32 v7, v97, s0, v70
	s_movk_i32 s0, 0x7f8
	v_fma_f32 v65, v90, 2.0, -v51
	v_fma_f32 v71, v99, 2.0, -v8
	v_lshl_add_u32 v50, v7, 2, 0
	v_and_or_b32 v7, v98, s0, v66
	s_movk_i32 s0, 0x4f8
	v_sub_f32_e32 v52, v102, v52
	v_sub_f32_e32 v14, v103, v14
	ds_write2_b32 v42, v65, v51 offset1:4
	ds_write2_b32 v50, v71, v8 offset1:4
	v_lshl_add_u32 v8, v7, 2, 0
	v_and_or_b32 v7, v67, s0, v72
	s_movk_i32 s0, 0x5f8
	v_sub_f32_e32 v47, v53, v79
	v_sub_f32_e32 v77, v59, v38
	v_fma_f32 v38, v102, 2.0, -v52
	v_fma_f32 v79, v103, 2.0, -v14
	v_sub_f32_e32 v15, v104, v15
	v_sub_f32_e32 v40, v6, v40
	v_lshl_add_u32 v51, v7, 2, 0
	v_and_or_b32 v7, v81, s0, v73
	v_sub_f32_e32 v39, v5, v39
	v_fma_f32 v84, v104, 2.0, -v15
	v_fma_f32 v85, v6, 2.0, -v40
	v_sub_f32_e32 v6, v106, v48
	ds_write2_b32 v8, v38, v52 offset1:4
	ds_write2_b32 v51, v79, v14 offset1:4
	v_lshl_add_u32 v14, v7, 2, 0
	v_and_or_b32 v7, v82, s0, v75
	v_fma_f32 v12, v12, 2.0, -v13
	v_sub_f32_e32 v45, v54, v45
	v_sub_f32_e32 v16, v55, v16
	;; [unrolled: 1-line block ×5, first 2 shown]
	v_fma_f32 v5, v5, 2.0, -v39
	v_fma_f32 v48, v106, 2.0, -v6
	ds_write2_b32 v14, v84, v15 offset1:4
	v_lshl_add_u32 v15, v7, 2, 0
	v_add_u32_e32 v38, 0x800, v20
	v_fma_f32 v53, v53, 2.0, -v47
	v_fma_f32 v54, v54, 2.0, -v45
	;; [unrolled: 1-line block ×7, first 2 shown]
	ds_write2_b32 v15, v48, v6 offset1:4
	s_waitcnt lgkmcnt(0)
	; wave barrier
	s_waitcnt lgkmcnt(0)
	ds_read2_b32 v[6:7], v33 offset0:177 offset1:240
	ds_read2_b32 v[60:61], v38 offset0:55 offset1:118
	;; [unrolled: 1-line block ×7, first 2 shown]
	ds_read_b32 v75, v22
	ds_read_b32 v79, v21
	;; [unrolled: 1-line block ×9, first 2 shown]
	ds_read_b32 v90, v20 offset:5796
	s_waitcnt lgkmcnt(0)
	; wave barrier
	s_waitcnt lgkmcnt(0)
	ds_write2_b32 v83, v12, v13 offset1:4
	ds_write2_b32 v10, v44, v43 offset1:4
	;; [unrolled: 1-line block ×12, first 2 shown]
	v_and_b32_e32 v5, 7, v94
	v_lshlrev_b32_e32 v8, 4, v5
	s_waitcnt lgkmcnt(0)
	; wave barrier
	s_waitcnt lgkmcnt(0)
	global_load_dwordx4 v[8:11], v8, s[4:5] offset:48
	v_and_b32_e32 v39, 7, v78
	v_lshlrev_b32_e32 v12, 4, v39
	global_load_dwordx4 v[12:15], v12, s[4:5] offset:48
	v_and_b32_e32 v83, 7, v101
	v_lshlrev_b32_e32 v16, 4, v83
	;; [unrolled: 3-line block ×4, first 2 shown]
	global_load_dwordx4 v[44:47], v44, s[4:5] offset:48
	v_lshlrev_b32_e32 v48, 4, v91
	global_load_dwordx4 v[48:51], v48, s[4:5] offset:48
	v_lshlrev_b32_e32 v52, 4, v92
	;; [unrolled: 2-line block ×3, first 2 shown]
	global_load_dwordx4 v[56:59], v56, s[4:5] offset:48
	ds_read2_b32 v[72:73], v38 offset0:55 offset1:118
	ds_read2_b32 v[76:77], v34 offset0:47 offset1:110
	s_movk_i32 s0, 0xab
	s_mov_b32 s1, 0xaaab
	s_waitcnt vmcnt(7) lgkmcnt(1)
	v_mul_f32_e32 v95, v72, v9
	v_fma_f32 v95, v60, v8, -v95
	v_mul_f32_e32 v60, v60, v9
	v_fmac_f32_e32 v60, v72, v8
	s_waitcnt lgkmcnt(0)
	v_mul_f32_e32 v8, v76, v11
	v_fma_f32 v72, v62, v10, -v8
	v_mul_f32_e32 v62, v62, v11
	s_waitcnt vmcnt(6)
	v_mul_f32_e32 v8, v73, v13
	v_fmac_f32_e32 v62, v76, v10
	v_fma_f32 v76, v61, v12, -v8
	v_mul_f32_e32 v61, v61, v13
	ds_read2_b32 v[8:9], v38 offset0:181 offset1:244
	v_mul_f32_e32 v10, v77, v15
	v_fmac_f32_e32 v61, v73, v12
	v_fma_f32 v73, v63, v14, -v10
	ds_read2_b32 v[10:11], v34 offset0:173 offset1:236
	s_waitcnt vmcnt(5) lgkmcnt(1)
	v_mul_f32_e32 v12, v8, v17
	v_mul_f32_e32 v17, v64, v17
	;; [unrolled: 1-line block ×3, first 2 shown]
	v_fmac_f32_e32 v17, v8, v16
	s_waitcnt lgkmcnt(0)
	v_mul_f32_e32 v8, v10, v19
	v_fmac_f32_e32 v15, v77, v14
	v_fma_f32 v14, v64, v16, -v12
	v_fma_f32 v16, v66, v18, -v8
	v_mul_f32_e32 v19, v66, v19
	s_waitcnt vmcnt(4)
	v_mul_f32_e32 v8, v9, v41
	v_mul_f32_e32 v41, v65, v41
	v_fmac_f32_e32 v19, v10, v18
	v_fma_f32 v18, v65, v40, -v8
	v_fmac_f32_e32 v41, v9, v40
	ds_read2_b32 v[8:9], v33 offset0:51 offset1:114
	v_mul_f32_e32 v10, v11, v43
	v_mul_f32_e32 v43, v67, v43
	v_fma_f32 v40, v67, v42, -v10
	v_fmac_f32_e32 v43, v11, v42
	ds_read2_b32 v[10:11], v36 offset0:43 offset1:106
	ds_read_b32 v63, v37
	s_waitcnt vmcnt(3) lgkmcnt(2)
	v_mul_f32_e32 v12, v8, v45
	v_fma_f32 v42, v68, v44, -v12
	ds_read2_b32 v[12:13], v33 offset0:177 offset1:240
	v_mul_f32_e32 v45, v68, v45
	v_fmac_f32_e32 v45, v8, v44
	s_waitcnt lgkmcnt(2)
	v_mul_f32_e32 v8, v10, v47
	v_mul_f32_e32 v44, v70, v47
	v_fma_f32 v8, v70, v46, -v8
	v_fmac_f32_e32 v44, v10, v46
	s_waitcnt vmcnt(2)
	v_mul_f32_e32 v46, v69, v49
	v_mul_f32_e32 v47, v71, v51
	;; [unrolled: 1-line block ×3, first 2 shown]
	v_fmac_f32_e32 v46, v9, v48
	v_mul_f32_e32 v9, v11, v51
	v_fmac_f32_e32 v47, v11, v50
	s_waitcnt vmcnt(1) lgkmcnt(1)
	v_mul_f32_e32 v11, v63, v53
	v_mul_f32_e32 v53, v87, v53
	v_fma_f32 v11, v87, v52, -v11
	v_fmac_f32_e32 v53, v63, v52
	s_waitcnt lgkmcnt(0)
	v_mul_f32_e32 v52, v13, v55
	v_fma_f32 v52, v7, v54, -v52
	v_mul_f32_e32 v7, v7, v55
	v_fma_f32 v10, v69, v48, -v10
	v_fma_f32 v9, v71, v50, -v9
	ds_read_b32 v48, v22
	ds_read_b32 v49, v21
	;; [unrolled: 1-line block ×7, first 2 shown]
	v_fmac_f32_e32 v7, v13, v54
	ds_read_b32 v54, v20
	ds_read_b32 v13, v20 offset:5796
	s_waitcnt vmcnt(0)
	v_mul_f32_e32 v55, v12, v57
	v_fma_f32 v55, v6, v56, -v55
	v_mul_f32_e32 v6, v6, v57
	v_fmac_f32_e32 v6, v12, v56
	v_mul_f32_e32 v56, v90, v59
	v_add_f32_e32 v57, v11, v52
	s_waitcnt lgkmcnt(0)
	v_mul_f32_e32 v12, v13, v59
	v_fmac_f32_e32 v56, v13, v58
	v_add_f32_e32 v13, v89, v11
	v_fmac_f32_e32 v89, -0.5, v57
	v_sub_f32_e32 v57, v53, v7
	v_fma_f32 v12, v90, v58, -v12
	v_fmamk_f32 v58, v57, 0x3f5db3d7, v89
	v_fmac_f32_e32 v89, 0xbf5db3d7, v57
	v_add_f32_e32 v57, v54, v53
	v_add_f32_e32 v57, v57, v7
	;; [unrolled: 1-line block ×3, first 2 shown]
	v_fmac_f32_e32 v54, -0.5, v7
	v_sub_f32_e32 v7, v11, v52
	v_add_f32_e32 v11, v95, v72
	v_add_f32_e32 v13, v13, v52
	v_fmamk_f32 v52, v7, 0xbf5db3d7, v54
	v_fmac_f32_e32 v54, 0x3f5db3d7, v7
	v_add_f32_e32 v7, v75, v95
	v_fmac_f32_e32 v75, -0.5, v11
	v_sub_f32_e32 v11, v60, v62
	v_fmamk_f32 v53, v11, 0x3f5db3d7, v75
	v_fmac_f32_e32 v75, 0xbf5db3d7, v11
	v_add_f32_e32 v11, v48, v60
	v_add_f32_e32 v59, v11, v62
	v_add_f32_e32 v11, v60, v62
	v_fmac_f32_e32 v48, -0.5, v11
	v_sub_f32_e32 v11, v95, v72
	v_add_f32_e32 v62, v76, v73
	v_fmamk_f32 v60, v11, 0xbf5db3d7, v48
	v_fmac_f32_e32 v48, 0x3f5db3d7, v11
	v_add_f32_e32 v11, v79, v76
	v_fmac_f32_e32 v79, -0.5, v62
	v_sub_f32_e32 v62, v61, v15
	v_fmamk_f32 v63, v62, 0x3f5db3d7, v79
	v_fmac_f32_e32 v79, 0xbf5db3d7, v62
	v_add_f32_e32 v62, v49, v61
	v_add_f32_e32 v62, v62, v15
	v_add_f32_e32 v15, v61, v15
	v_fmac_f32_e32 v49, -0.5, v15
	v_sub_f32_e32 v15, v76, v73
	v_add_f32_e32 v67, v14, v16
	v_fmamk_f32 v61, v15, 0xbf5db3d7, v49
	v_fmac_f32_e32 v49, 0x3f5db3d7, v15
	v_add_f32_e32 v15, v80, v14
	v_fmac_f32_e32 v80, -0.5, v67
	v_sub_f32_e32 v67, v17, v19
	v_fmamk_f32 v68, v67, 0x3f5db3d7, v80
	v_fmac_f32_e32 v80, 0xbf5db3d7, v67
	v_add_f32_e32 v67, v50, v17
	v_add_f32_e32 v17, v17, v19
	v_add_f32_e32 v15, v15, v16
	v_fmac_f32_e32 v50, -0.5, v17
	v_sub_f32_e32 v14, v14, v16
	v_add_f32_e32 v16, v18, v40
	v_fmamk_f32 v69, v14, 0xbf5db3d7, v50
	v_fmac_f32_e32 v50, 0x3f5db3d7, v14
	v_add_f32_e32 v14, v81, v18
	v_fmac_f32_e32 v81, -0.5, v16
	v_sub_f32_e32 v16, v41, v43
	v_fmamk_f32 v17, v16, 0x3f5db3d7, v81
	v_fmac_f32_e32 v81, 0xbf5db3d7, v16
	v_add_f32_e32 v16, v51, v41
	v_add_f32_e32 v70, v16, v43
	v_add_f32_e32 v16, v41, v43
	v_fmac_f32_e32 v51, -0.5, v16
	v_sub_f32_e32 v16, v18, v40
	v_add_f32_e32 v18, v42, v8
	v_fmamk_f32 v41, v16, 0xbf5db3d7, v51
	v_fmac_f32_e32 v51, 0x3f5db3d7, v16
	v_add_f32_e32 v16, v82, v42
	v_fmac_f32_e32 v82, -0.5, v18
	v_sub_f32_e32 v18, v45, v44
	v_add_f32_e32 v67, v67, v19
	v_fmamk_f32 v19, v18, 0x3f5db3d7, v82
	v_fmac_f32_e32 v82, 0xbf5db3d7, v18
	v_add_f32_e32 v18, v64, v45
	v_add_f32_e32 v43, v18, v44
	;; [unrolled: 1-line block ×4, first 2 shown]
	v_fmac_f32_e32 v64, -0.5, v18
	v_sub_f32_e32 v8, v42, v8
	v_add_f32_e32 v18, v10, v9
	v_fmamk_f32 v42, v8, 0xbf5db3d7, v64
	v_fmac_f32_e32 v64, 0x3f5db3d7, v8
	v_add_f32_e32 v8, v84, v10
	v_fmac_f32_e32 v84, -0.5, v18
	v_sub_f32_e32 v18, v46, v47
	v_add_f32_e32 v14, v14, v40
	v_fmamk_f32 v40, v18, 0x3f5db3d7, v84
	v_fmac_f32_e32 v84, 0xbf5db3d7, v18
	v_add_f32_e32 v18, v65, v46
	v_add_f32_e32 v44, v18, v47
	;; [unrolled: 1-line block ×4, first 2 shown]
	v_fmac_f32_e32 v65, -0.5, v18
	v_sub_f32_e32 v9, v10, v9
	v_add_f32_e32 v10, v55, v12
	v_fmamk_f32 v45, v9, 0xbf5db3d7, v65
	v_fmac_f32_e32 v65, 0x3f5db3d7, v9
	v_add_f32_e32 v9, v88, v55
	v_fmac_f32_e32 v88, -0.5, v10
	v_sub_f32_e32 v10, v6, v56
	v_fmamk_f32 v18, v10, 0x3f5db3d7, v88
	v_fmac_f32_e32 v88, 0xbf5db3d7, v10
	v_add_f32_e32 v10, v66, v6
	v_add_f32_e32 v6, v6, v56
	v_fmac_f32_e32 v66, -0.5, v6
	v_sub_f32_e32 v6, v55, v12
	v_fmamk_f32 v47, v6, 0xbf5db3d7, v66
	v_fmac_f32_e32 v66, 0x3f5db3d7, v6
	v_lshrrev_b32_e32 v6, 3, v100
	v_mul_u32_u24_e32 v6, 24, v6
	v_or_b32_e32 v6, v6, v92
	v_lshl_add_u32 v55, v6, 2, 0
	v_lshrrev_b32_e32 v6, 3, v94
	v_mul_lo_u32 v6, v6, 24
	v_or_b32_e32 v5, v6, v5
	v_add_f32_e32 v46, v10, v56
	v_lshl_add_u32 v56, v5, 2, 0
	v_lshrrev_b32_e32 v5, 3, v78
	v_mul_lo_u32 v5, v5, 24
	v_or_b32_e32 v5, v5, v39
	v_lshl_add_u32 v39, v5, 2, 0
	v_lshrrev_b32_e32 v5, 3, v101
	v_mul_lo_u32 v5, v5, 24
	v_add_f32_e32 v7, v7, v72
	v_or_b32_e32 v5, v5, v83
	s_waitcnt lgkmcnt(0)
	; wave barrier
	ds_write2_b32 v55, v13, v58 offset1:8
	ds_write_b32 v55, v89 offset:64
	ds_write2_b32 v56, v7, v53 offset1:8
	ds_write_b32 v56, v75 offset:64
	v_lshl_add_u32 v53, v5, 2, 0
	v_lshrrev_b32_e32 v5, 3, v0
	v_mul_lo_u32 v5, v5, 24
	v_or_b32_e32 v5, v5, v85
	v_lshl_add_u32 v58, v5, 2, 0
	v_lshrrev_b32_e32 v5, 3, v1
	v_mul_lo_u32 v5, v5, 24
	v_add_f32_e32 v11, v11, v73
	v_or_b32_e32 v5, v5, v86
	ds_write2_b32 v39, v11, v63 offset1:8
	ds_write_b32 v39, v79 offset:64
	v_lshl_add_u32 v63, v5, 2, 0
	v_lshrrev_b32_e32 v5, 3, v2
	v_mul_lo_u32 v5, v5, 24
	v_or_b32_e32 v5, v5, v91
	ds_write2_b32 v53, v15, v68 offset1:8
	ds_write_b32 v53, v80 offset:64
	v_lshl_add_u32 v68, v5, 2, 0
	v_lshrrev_b32_e32 v5, 3, v3
	v_mul_lo_u32 v5, v5, 24
	v_or_b32_e32 v5, v5, v93
	v_add_f32_e32 v9, v9, v12
	v_lshl_add_u32 v71, v5, 2, 0
	ds_write2_b32 v58, v14, v17 offset1:8
	ds_write_b32 v58, v81 offset:64
	ds_write2_b32 v63, v16, v19 offset1:8
	ds_write_b32 v63, v82 offset:64
	;; [unrolled: 2-line block ×4, first 2 shown]
	s_waitcnt lgkmcnt(0)
	; wave barrier
	s_waitcnt lgkmcnt(0)
	ds_read2_b32 v[6:7], v33 offset0:177 offset1:240
	ds_read2_b32 v[18:19], v38 offset0:55 offset1:118
	;; [unrolled: 1-line block ×7, first 2 shown]
	ds_read_b32 v75, v22
	ds_read_b32 v79, v21
	;; [unrolled: 1-line block ×9, first 2 shown]
	ds_read_b32 v87, v20 offset:5796
	s_waitcnt lgkmcnt(0)
	; wave barrier
	s_waitcnt lgkmcnt(0)
	ds_write2_b32 v55, v57, v52 offset1:8
	ds_write_b32 v55, v54 offset:64
	ds_write2_b32 v56, v59, v60 offset1:8
	ds_write_b32 v56, v48 offset:64
	;; [unrolled: 2-line block ×8, first 2 shown]
	v_mul_lo_u16_sdwa v41, v94, s0 dst_sel:DWORD dst_unused:UNUSED_PAD src0_sel:BYTE_0 src1_sel:DWORD
	v_lshrrev_b16_e32 v41, 12, v41
	v_mul_lo_u16_e32 v42, 24, v41
	v_mul_lo_u16_sdwa v46, v78, s0 dst_sel:DWORD dst_unused:UNUSED_PAD src0_sel:BYTE_0 src1_sel:DWORD
	v_mov_b32_e32 v39, 4
	v_sub_u16_e32 v88, v94, v42
	v_lshrrev_b16_e32 v89, 12, v46
	v_lshlrev_b32_sdwa v42, v39, v88 dst_sel:DWORD dst_unused:UNUSED_PAD src0_sel:DWORD src1_sel:BYTE_0
	v_mul_lo_u16_e32 v46, 24, v89
	s_waitcnt lgkmcnt(0)
	; wave barrier
	s_waitcnt lgkmcnt(0)
	global_load_dwordx4 v[42:45], v42, s[4:5] offset:176
	v_sub_u16_e32 v90, v78, v46
	v_lshlrev_b32_sdwa v46, v39, v90 dst_sel:DWORD dst_unused:UNUSED_PAD src0_sel:DWORD src1_sel:BYTE_0
	global_load_dwordx4 v[46:49], v46, s[4:5] offset:176
	v_mul_lo_u16_sdwa v50, v101, s0 dst_sel:DWORD dst_unused:UNUSED_PAD src0_sel:BYTE_0 src1_sel:DWORD
	v_lshrrev_b16_e32 v91, 12, v50
	v_mul_lo_u16_e32 v50, 24, v91
	v_mul_u32_u24_sdwa v54, v0, s1 dst_sel:DWORD dst_unused:UNUSED_PAD src0_sel:WORD_0 src1_sel:DWORD
	v_sub_u16_e32 v92, v101, v50
	v_lshrrev_b32_e32 v93, 20, v54
	v_lshlrev_b32_sdwa v50, v39, v92 dst_sel:DWORD dst_unused:UNUSED_PAD src0_sel:DWORD src1_sel:BYTE_0
	v_mul_lo_u16_e32 v54, 24, v93
	global_load_dwordx4 v[50:53], v50, s[4:5] offset:176
	v_sub_u16_e32 v95, v0, v54
	v_lshlrev_b32_e32 v54, 4, v95
	global_load_dwordx4 v[54:57], v54, s[4:5] offset:176
	v_mul_u32_u24_sdwa v58, v1, s1 dst_sel:DWORD dst_unused:UNUSED_PAD src0_sel:WORD_0 src1_sel:DWORD
	v_lshrrev_b32_e32 v96, 20, v58
	v_mul_lo_u16_e32 v58, 24, v96
	v_sub_u16_e32 v97, v1, v58
	v_mul_u32_u24_sdwa v62, v2, s1 dst_sel:DWORD dst_unused:UNUSED_PAD src0_sel:WORD_0 src1_sel:DWORD
	v_lshlrev_b32_e32 v58, 4, v97
	v_lshrrev_b32_e32 v98, 20, v62
	global_load_dwordx4 v[58:61], v58, s[4:5] offset:176
	v_mul_lo_u16_e32 v62, 24, v98
	v_sub_u16_e32 v99, v2, v62
	v_lshlrev_b32_e32 v62, 4, v99
	global_load_dwordx4 v[62:65], v62, s[4:5] offset:176
	v_mul_lo_u16_sdwa v66, v100, s0 dst_sel:DWORD dst_unused:UNUSED_PAD src0_sel:BYTE_0 src1_sel:DWORD
	v_lshrrev_b16_e32 v102, 12, v66
	v_mul_lo_u16_e32 v66, 24, v102
	v_sub_u16_e32 v103, v100, v66
	v_mul_u32_u24_sdwa v70, v3, s1 dst_sel:DWORD dst_unused:UNUSED_PAD src0_sel:WORD_0 src1_sel:DWORD
	v_lshlrev_b32_sdwa v66, v39, v103 dst_sel:DWORD dst_unused:UNUSED_PAD src0_sel:DWORD src1_sel:BYTE_0
	v_lshrrev_b32_e32 v104, 20, v70
	global_load_dwordx4 v[66:69], v66, s[4:5] offset:176
	v_mul_lo_u16_e32 v70, 24, v104
	v_sub_u16_e32 v105, v3, v70
	v_lshlrev_b32_e32 v70, 4, v105
	global_load_dwordx4 v[70:73], v70, s[4:5] offset:176
	ds_read2_b32 v[76:77], v38 offset0:55 offset1:118
	ds_read2_b32 v[80:81], v34 offset0:47 offset1:110
	s_mov_b32 s1, 0x5040100
	s_movk_i32 s0, 0x120
	s_waitcnt vmcnt(7) lgkmcnt(1)
	v_mul_f32_e32 v106, v76, v43
	v_fma_f32 v106, v18, v42, -v106
	v_mul_f32_e32 v107, v18, v43
	s_waitcnt lgkmcnt(0)
	v_mul_f32_e32 v18, v80, v45
	v_fmac_f32_e32 v107, v76, v42
	v_fma_f32 v76, v16, v44, -v18
	v_mul_f32_e32 v45, v16, v45
	s_waitcnt vmcnt(6)
	v_mul_f32_e32 v16, v77, v47
	v_fmac_f32_e32 v45, v80, v44
	v_fma_f32 v44, v19, v46, -v16
	v_mul_f32_e32 v47, v19, v47
	v_mul_f32_e32 v16, v81, v49
	ds_read2_b32 v[18:19], v38 offset0:181 offset1:244
	v_fmac_f32_e32 v47, v77, v46
	v_fma_f32 v46, v17, v48, -v16
	v_mul_f32_e32 v49, v17, v49
	ds_read2_b32 v[16:17], v34 offset0:173 offset1:236
	s_waitcnt vmcnt(5) lgkmcnt(1)
	v_mul_f32_e32 v42, v18, v51
	v_fmac_f32_e32 v49, v81, v48
	v_fma_f32 v48, v14, v50, -v42
	v_mul_f32_e32 v51, v14, v51
	s_waitcnt lgkmcnt(0)
	v_mul_f32_e32 v14, v16, v53
	ds_read2_b32 v[42:43], v33 offset0:51 offset1:114
	v_fmac_f32_e32 v51, v18, v50
	v_fma_f32 v18, v12, v52, -v14
	v_mul_f32_e32 v12, v12, v53
	s_waitcnt vmcnt(4)
	v_mul_f32_e32 v14, v19, v55
	v_fmac_f32_e32 v12, v16, v52
	v_fma_f32 v16, v15, v54, -v14
	v_mul_f32_e32 v50, v15, v55
	ds_read2_b32 v[14:15], v36 offset0:43 offset1:106
	v_fmac_f32_e32 v50, v19, v54
	v_mul_f32_e32 v19, v17, v57
	v_fma_f32 v19, v13, v56, -v19
	v_mul_f32_e32 v13, v13, v57
	v_fmac_f32_e32 v13, v17, v56
	s_waitcnt vmcnt(3) lgkmcnt(1)
	v_mul_f32_e32 v17, v42, v59
	v_fma_f32 v17, v10, v58, -v17
	v_mul_f32_e32 v10, v10, v59
	v_fmac_f32_e32 v10, v42, v58
	s_waitcnt lgkmcnt(0)
	v_mul_f32_e32 v42, v14, v61
	v_fma_f32 v42, v8, v60, -v42
	v_mul_f32_e32 v52, v8, v61
	s_waitcnt vmcnt(2)
	v_mul_f32_e32 v8, v43, v63
	v_fmac_f32_e32 v52, v14, v60
	v_fma_f32 v14, v11, v62, -v8
	v_mul_f32_e32 v11, v11, v63
	v_mul_f32_e32 v8, v15, v65
	;; [unrolled: 1-line block ×3, first 2 shown]
	v_fmac_f32_e32 v11, v43, v62
	v_fma_f32 v43, v9, v64, -v8
	ds_read_b32 v53, v37
	v_fmac_f32_e32 v54, v15, v64
	ds_read_b32 v15, v31
	ds_read2_b32 v[8:9], v33 offset0:177 offset1:240
	s_waitcnt vmcnt(1)
	v_mul_f32_e32 v56, v85, v67
	ds_read_b32 v57, v20 offset:5796
	ds_read_b32 v60, v20
	s_waitcnt lgkmcnt(4)
	v_mul_f32_e32 v55, v53, v67
	v_fmac_f32_e32 v56, v53, v66
	s_waitcnt lgkmcnt(2)
	v_mul_f32_e32 v53, v9, v69
	v_fma_f32 v53, v7, v68, -v53
	v_mul_f32_e32 v7, v7, v69
	v_fma_f32 v55, v85, v66, -v55
	v_fmac_f32_e32 v7, v9, v68
	s_waitcnt vmcnt(0)
	v_mul_f32_e32 v9, v8, v71
	v_fma_f32 v9, v6, v70, -v9
	v_mul_f32_e32 v6, v6, v71
	v_mul_f32_e32 v58, v87, v73
	v_add_f32_e32 v59, v55, v53
	v_fmac_f32_e32 v6, v8, v70
	s_waitcnt lgkmcnt(1)
	v_mul_f32_e32 v8, v57, v73
	v_fmac_f32_e32 v58, v57, v72
	v_add_f32_e32 v57, v86, v55
	v_fmac_f32_e32 v86, -0.5, v59
	v_sub_f32_e32 v59, v56, v7
	v_fmamk_f32 v61, v59, 0x3f5db3d7, v86
	v_fmac_f32_e32 v86, 0xbf5db3d7, v59
	s_waitcnt lgkmcnt(0)
	v_add_f32_e32 v59, v60, v56
	v_add_f32_e32 v62, v59, v7
	;; [unrolled: 1-line block ×4, first 2 shown]
	v_fmac_f32_e32 v60, -0.5, v7
	v_sub_f32_e32 v7, v55, v53
	v_add_f32_e32 v53, v106, v76
	v_fmamk_f32 v55, v7, 0xbf5db3d7, v60
	v_fmac_f32_e32 v60, 0x3f5db3d7, v7
	v_add_f32_e32 v7, v75, v106
	v_fmac_f32_e32 v75, -0.5, v53
	v_sub_f32_e32 v53, v107, v45
	v_fmamk_f32 v56, v53, 0x3f5db3d7, v75
	v_fmac_f32_e32 v75, 0xbf5db3d7, v53
	ds_read_b32 v63, v22
	ds_read_b32 v64, v21
	;; [unrolled: 1-line block ×6, first 2 shown]
	s_waitcnt lgkmcnt(5)
	v_add_f32_e32 v53, v63, v107
	v_add_f32_e32 v69, v53, v45
	;; [unrolled: 1-line block ×3, first 2 shown]
	v_fmac_f32_e32 v63, -0.5, v45
	v_sub_f32_e32 v45, v106, v76
	v_add_f32_e32 v53, v44, v46
	v_fmamk_f32 v70, v45, 0xbf5db3d7, v63
	v_fmac_f32_e32 v63, 0x3f5db3d7, v45
	v_add_f32_e32 v45, v79, v44
	v_fmac_f32_e32 v79, -0.5, v53
	v_sub_f32_e32 v53, v47, v49
	v_fmamk_f32 v59, v53, 0x3f5db3d7, v79
	v_fmac_f32_e32 v79, 0xbf5db3d7, v53
	s_waitcnt lgkmcnt(4)
	v_add_f32_e32 v53, v64, v47
	v_add_f32_e32 v47, v47, v49
	v_fmac_f32_e32 v64, -0.5, v47
	v_sub_f32_e32 v44, v44, v46
	v_add_f32_e32 v47, v48, v18
	v_add_f32_e32 v45, v45, v46
	v_fmamk_f32 v46, v44, 0xbf5db3d7, v64
	v_fmac_f32_e32 v64, 0x3f5db3d7, v44
	v_add_f32_e32 v44, v82, v48
	v_fmac_f32_e32 v82, -0.5, v47
	v_sub_f32_e32 v47, v51, v12
	v_add_f32_e32 v71, v53, v49
	v_fmamk_f32 v49, v47, 0x3f5db3d7, v82
	v_fmac_f32_e32 v82, 0xbf5db3d7, v47
	s_waitcnt lgkmcnt(3)
	v_add_f32_e32 v47, v65, v51
	v_add_f32_e32 v47, v47, v12
	v_add_f32_e32 v12, v51, v12
	v_fmac_f32_e32 v65, -0.5, v12
	v_add_f32_e32 v12, v44, v18
	v_sub_f32_e32 v18, v48, v18
	v_add_f32_e32 v48, v16, v19
	v_fmamk_f32 v44, v18, 0xbf5db3d7, v65
	v_fmac_f32_e32 v65, 0x3f5db3d7, v18
	v_add_f32_e32 v18, v83, v16
	v_fmac_f32_e32 v83, -0.5, v48
	v_sub_f32_e32 v48, v50, v13
	v_fmamk_f32 v51, v48, 0x3f5db3d7, v83
	v_fmac_f32_e32 v83, 0xbf5db3d7, v48
	s_waitcnt lgkmcnt(2)
	v_add_f32_e32 v48, v66, v50
	v_fma_f32 v8, v87, v72, -v8
	v_add_f32_e32 v72, v48, v13
	v_add_f32_e32 v13, v50, v13
	v_fmac_f32_e32 v66, -0.5, v13
	v_add_f32_e32 v13, v18, v19
	v_sub_f32_e32 v16, v16, v19
	v_add_f32_e32 v18, v17, v42
	v_fmamk_f32 v50, v16, 0xbf5db3d7, v66
	v_fmac_f32_e32 v66, 0x3f5db3d7, v16
	v_add_f32_e32 v16, v84, v17
	v_fmac_f32_e32 v84, -0.5, v18
	v_sub_f32_e32 v18, v10, v52
	v_fmamk_f32 v19, v18, 0x3f5db3d7, v84
	v_fmac_f32_e32 v84, 0xbf5db3d7, v18
	s_waitcnt lgkmcnt(1)
	v_add_f32_e32 v18, v67, v10
	v_add_f32_e32 v10, v10, v52
	;; [unrolled: 1-line block ×3, first 2 shown]
	v_fmac_f32_e32 v67, -0.5, v10
	v_add_f32_e32 v10, v16, v42
	v_sub_f32_e32 v16, v17, v42
	v_add_f32_e32 v18, v14, v43
	v_fmamk_f32 v17, v16, 0xbf5db3d7, v67
	v_fmac_f32_e32 v67, 0x3f5db3d7, v16
	v_add_f32_e32 v16, v40, v14
	v_fmac_f32_e32 v40, -0.5, v18
	v_sub_f32_e32 v18, v11, v54
	v_fmamk_f32 v42, v18, 0x3f5db3d7, v40
	v_fmac_f32_e32 v40, 0xbf5db3d7, v18
	s_waitcnt lgkmcnt(0)
	v_add_f32_e32 v18, v68, v11
	v_add_f32_e32 v11, v11, v54
	;; [unrolled: 1-line block ×4, first 2 shown]
	v_fmac_f32_e32 v68, -0.5, v11
	v_sub_f32_e32 v14, v14, v43
	v_add_f32_e32 v18, v9, v8
	v_add_f32_e32 v11, v16, v43
	v_fmamk_f32 v16, v14, 0xbf5db3d7, v68
	v_fmac_f32_e32 v68, 0x3f5db3d7, v14
	v_add_f32_e32 v14, v5, v9
	v_fmac_f32_e32 v5, -0.5, v18
	v_sub_f32_e32 v18, v6, v58
	v_fmamk_f32 v43, v18, 0x3f5db3d7, v5
	v_fmac_f32_e32 v5, 0xbf5db3d7, v18
	v_add_f32_e32 v18, v15, v6
	v_add_f32_e32 v6, v6, v58
	v_fmac_f32_e32 v15, -0.5, v6
	v_add_f32_e32 v6, v14, v8
	v_sub_f32_e32 v8, v9, v8
	v_mov_b32_e32 v77, 2
	v_fmamk_f32 v14, v8, 0xbf5db3d7, v15
	v_fmac_f32_e32 v15, 0x3f5db3d7, v8
	v_mul_u32_u24_e32 v8, 0x120, v102
	v_lshlrev_b32_sdwa v9, v77, v103 dst_sel:DWORD dst_unused:UNUSED_PAD src0_sel:DWORD src1_sel:BYTE_0
	v_add3_u32 v80, 0, v8, v9
	v_mul_u32_u24_e32 v8, 0x120, v41
	v_lshlrev_b32_sdwa v9, v77, v88 dst_sel:DWORD dst_unused:UNUSED_PAD src0_sel:DWORD src1_sel:BYTE_0
	v_add3_u32 v41, 0, v8, v9
	s_waitcnt lgkmcnt(0)
	; wave barrier
	ds_write2_b32 v80, v57, v61 offset1:24
	ds_write_b32 v80, v86 offset:192
	ds_write2_b32 v41, v7, v56 offset1:24
	ds_write_b32 v41, v75 offset:192
	v_mul_u32_u24_e32 v7, 0x120, v89
	v_lshlrev_b32_sdwa v8, v77, v90 dst_sel:DWORD dst_unused:UNUSED_PAD src0_sel:DWORD src1_sel:BYTE_0
	v_add3_u32 v7, 0, v7, v8
	v_mul_u32_u24_e32 v8, 0x120, v91
	v_lshlrev_b32_sdwa v9, v77, v92 dst_sel:DWORD dst_unused:UNUSED_PAD src0_sel:DWORD src1_sel:BYTE_0
	ds_write2_b32 v7, v45, v59 offset1:24
	ds_write_b32 v7, v79 offset:192
	v_add3_u32 v45, 0, v8, v9
	v_perm_b32 v8, v96, v93, s1
	v_pk_mul_lo_u16 v8, v8, s0 op_sel_hi:[1,0]
	ds_write2_b32 v45, v12, v49 offset1:24
	ds_write_b32 v45, v82 offset:192
	v_and_b32_e32 v9, 0xffe0, v8
	v_lshlrev_b32_e32 v12, 2, v95
	v_add3_u32 v56, 0, v9, v12
	v_lshrrev_b32_e32 v8, 16, v8
	v_lshlrev_b32_e32 v9, 2, v97
	ds_write2_b32 v56, v13, v51 offset1:24
	ds_write_b32 v56, v83 offset:192
	v_add3_u32 v51, 0, v8, v9
	v_perm_b32 v8, v104, v98, s1
	v_pk_mul_lo_u16 v8, v8, s0 op_sel_hi:[1,0]
	ds_write2_b32 v51, v10, v19 offset1:24
	ds_write_b32 v51, v84 offset:192
	v_and_b32_e32 v9, 0xffe0, v8
	v_lshlrev_b32_e32 v10, 2, v99
	v_add3_u32 v57, 0, v9, v10
	v_lshrrev_b32_e32 v8, 16, v8
	v_lshlrev_b32_e32 v9, 2, v105
	ds_write2_b32 v57, v11, v42 offset1:24
	ds_write_b32 v57, v40 offset:192
	v_add3_u32 v40, 0, v8, v9
	ds_write2_b32 v40, v6, v43 offset1:24
	ds_write_b32 v40, v5 offset:192
	v_mov_b32_e32 v5, 0
	v_add_f32_e32 v54, v18, v58
	s_waitcnt lgkmcnt(0)
	; wave barrier
	s_waitcnt lgkmcnt(0)
	ds_read2_b32 v[8:9], v33 offset0:177 offset1:240
	ds_read2_b32 v[18:19], v38 offset0:55 offset1:118
	;; [unrolled: 1-line block ×7, first 2 shown]
	ds_read_b32 v92, v22
	ds_read_b32 v93, v21
	;; [unrolled: 1-line block ×9, first 2 shown]
	ds_read_b32 v106, v20 offset:5796
	s_waitcnt lgkmcnt(0)
	; wave barrier
	s_waitcnt lgkmcnt(0)
	ds_write2_b32 v80, v62, v55 offset1:24
	ds_write_b32 v80, v60 offset:192
	ds_write2_b32 v41, v69, v70 offset1:24
	ds_write_b32 v41, v63 offset:192
	;; [unrolled: 2-line block ×8, first 2 shown]
	v_lshl_add_u64 v[14:15], v[4:5], 3, s[4:5]
	v_add_u32_e32 v4, -9, v100
	v_cmp_gt_u32_e64 s[0:1], 9, v100
	s_waitcnt lgkmcnt(0)
	; wave barrier
	s_waitcnt lgkmcnt(0)
	v_cndmask_b32_e64 v7, v4, v94, s[0:1]
	v_lshlrev_b32_e32 v4, 1, v7
	v_lshl_add_u64 v[4:5], v[4:5], 3, s[4:5]
	global_load_dwordx4 v[40:43], v[4:5], off offset:560
	v_mov_b32_e32 v4, 57
	v_mul_lo_u16_sdwa v5, v78, v4 dst_sel:DWORD dst_unused:UNUSED_PAD src0_sel:BYTE_0 src1_sel:DWORD
	v_mul_lo_u16_sdwa v4, v101, v4 dst_sel:DWORD dst_unused:UNUSED_PAD src0_sel:BYTE_0 src1_sel:DWORD
	v_lshrrev_b16_e32 v51, 12, v5
	v_lshrrev_b16_e32 v76, 12, v4
	v_mul_lo_u16_e32 v5, 0x48, v51
	v_mul_lo_u16_e32 v4, 0x48, v76
	v_sub_u16_e32 v60, v78, v5
	v_sub_u16_e32 v107, v101, v4
	v_lshlrev_b32_sdwa v5, v39, v60 dst_sel:DWORD dst_unused:UNUSED_PAD src0_sel:DWORD src1_sel:BYTE_0
	v_lshlrev_b32_sdwa v4, v39, v107 dst_sel:DWORD dst_unused:UNUSED_PAD src0_sel:DWORD src1_sel:BYTE_0
	s_mov_b32 s0, 0xe38f
	global_load_dwordx4 v[44:47], v5, s[4:5] offset:560
	global_load_dwordx4 v[62:65], v4, s[4:5] offset:560
	v_mul_u32_u24_sdwa v4, v0, s0 dst_sel:DWORD dst_unused:UNUSED_PAD src0_sel:WORD_0 src1_sel:DWORD
	v_lshrrev_b32_e32 v39, 22, v4
	v_mul_lo_u16_e32 v4, 0x48, v39
	v_sub_u16_e32 v108, v0, v4
	v_lshlrev_b32_e32 v0, 4, v108
	global_load_dwordx4 v[66:69], v0, s[4:5] offset:560
	global_load_dwordx4 v[80:83], v[14:15], off offset:560
	v_mul_u32_u24_sdwa v0, v1, s0 dst_sel:DWORD dst_unused:UNUSED_PAD src0_sel:WORD_0 src1_sel:DWORD
	v_lshrrev_b32_e32 v109, 22, v0
	v_mul_lo_u16_e32 v0, 0x48, v109
	v_sub_u16_e32 v110, v1, v0
	v_lshlrev_b32_e32 v0, 4, v110
	global_load_dwordx4 v[84:87], v0, s[4:5] offset:560
	v_mul_u32_u24_sdwa v0, v2, s0 dst_sel:DWORD dst_unused:UNUSED_PAD src0_sel:WORD_0 src1_sel:DWORD
	v_lshrrev_b32_e32 v111, 22, v0
	v_mul_lo_u16_e32 v0, 0x48, v111
	v_sub_u16_e32 v112, v2, v0
	v_lshlrev_b32_e32 v0, 4, v112
	global_load_dwordx4 v[88:91], v0, s[4:5] offset:560
	;; [unrolled: 6-line block ×3, first 2 shown]
	ds_read2_b32 v[0:1], v38 offset0:55 offset1:118
	ds_read2_b32 v[2:3], v34 offset0:47 offset1:110
	;; [unrolled: 1-line block ×4, first 2 shown]
	ds_read_b32 v37, v37
	v_cmp_lt_u32_e64 s[0:1], 8, v100
	v_lshlrev_b32_e32 v7, 2, v7
	s_waitcnt vmcnt(7)
	v_mul_f32_e32 v50, v18, v41
	s_waitcnt lgkmcnt(4)
	v_mul_f32_e32 v14, v0, v41
	v_fmac_f32_e32 v50, v0, v40
	s_waitcnt lgkmcnt(3)
	v_mul_f32_e32 v0, v2, v43
	v_fma_f32 v54, v48, v42, -v0
	v_mul_f32_e32 v61, v48, v43
	v_fma_f32 v16, v18, v40, -v14
	v_fmac_f32_e32 v61, v2, v42
	s_waitcnt vmcnt(6)
	v_mul_f32_e32 v0, v1, v45
	v_fma_f32 v15, v19, v44, -v0
	v_mul_f32_e32 v0, v3, v47
	v_fma_f32 v43, v49, v46, -v0
	s_waitcnt vmcnt(5) lgkmcnt(2)
	v_mul_f32_e32 v0, v4, v63
	v_fma_f32 v14, v52, v62, -v0
	v_mul_f32_e32 v18, v52, v63
	s_waitcnt lgkmcnt(1)
	v_mul_f32_e32 v0, v70, v65
	s_waitcnt vmcnt(4)
	v_mul_f32_e32 v17, v53, v67
	v_mul_f32_e32 v41, v19, v45
	v_fmac_f32_e32 v18, v4, v62
	v_fma_f32 v19, v58, v64, -v0
	v_mul_f32_e32 v0, v5, v67
	v_fmac_f32_e32 v17, v5, v66
	ds_read2_b32 v[4:5], v33 offset0:177 offset1:240
	v_fmac_f32_e32 v41, v1, v44
	v_mul_f32_e32 v57, v49, v47
	v_mul_f32_e32 v1, v71, v69
	v_fmac_f32_e32 v57, v3, v46
	v_fma_f32 v40, v59, v68, -v1
	ds_read2_b32 v[2:3], v33 offset0:51 offset1:114
	ds_read2_b32 v[44:45], v36 offset0:43 offset1:106
	ds_read_b32 v1, v31
	v_mul_f32_e32 v56, v59, v69
	s_waitcnt vmcnt(3) lgkmcnt(4)
	v_mul_f32_e32 v31, v37, v81
	v_fmac_f32_e32 v56, v71, v68
	v_fma_f32 v71, v75, v80, -v31
	s_waitcnt lgkmcnt(3)
	v_mul_f32_e32 v31, v5, v83
	v_mul_f32_e32 v79, v9, v83
	;; [unrolled: 1-line block ×3, first 2 shown]
	v_fma_f32 v73, v9, v82, -v31
	v_fmac_f32_e32 v79, v5, v82
	s_waitcnt vmcnt(2) lgkmcnt(2)
	v_mul_f32_e32 v5, v2, v85
	v_mul_f32_e32 v62, v12, v85
	v_fmac_f32_e32 v72, v37, v80
	v_fma_f32 v37, v12, v84, -v5
	v_fmac_f32_e32 v62, v2, v84
	s_waitcnt lgkmcnt(1)
	v_mul_f32_e32 v2, v44, v87
	v_add_f32_e32 v5, v71, v73
	v_fma_f32 v63, v10, v86, -v2
	s_waitcnt vmcnt(1)
	v_mul_f32_e32 v2, v3, v89
	v_add_f32_e32 v9, v105, v71
	v_fmac_f32_e32 v105, -0.5, v5
	v_sub_f32_e32 v5, v72, v79
	v_mul_f32_e32 v55, v58, v65
	v_mul_f32_e32 v67, v10, v87
	v_fma_f32 v12, v13, v88, -v2
	v_mul_f32_e32 v2, v45, v91
	v_fmamk_f32 v10, v5, 0x3f5db3d7, v105
	v_fmac_f32_e32 v105, 0xbf5db3d7, v5
	v_add_f32_e32 v5, v16, v54
	v_fmac_f32_e32 v55, v70, v64
	v_fma_f32 v0, v53, v66, -v0
	v_fma_f32 v66, v11, v90, -v2
	v_mul_f32_e32 v70, v11, v91
	v_add_f32_e32 v11, v92, v16
	v_fmac_f32_e32 v92, -0.5, v5
	v_sub_f32_e32 v5, v50, v61
	v_fmamk_f32 v31, v5, 0x3f5db3d7, v92
	v_fmac_f32_e32 v92, 0xbf5db3d7, v5
	v_add_f32_e32 v5, v15, v43
	v_add_f32_e32 v42, v93, v15
	v_fmac_f32_e32 v93, -0.5, v5
	v_sub_f32_e32 v5, v41, v57
	v_fmac_f32_e32 v67, v44, v86
	v_mul_f32_e32 v13, v13, v89
	v_fmamk_f32 v44, v5, 0x3f5db3d7, v93
	v_fmac_f32_e32 v93, 0xbf5db3d7, v5
	v_add_f32_e32 v5, v14, v19
	v_fmac_f32_e32 v13, v3, v88
	v_fmac_f32_e32 v70, v45, v90
	s_waitcnt vmcnt(0)
	v_mul_f32_e32 v2, v8, v96
	v_mul_f32_e32 v3, v8, v97
	v_add_f32_e32 v45, v95, v14
	v_fmac_f32_e32 v95, -0.5, v5
	v_sub_f32_e32 v5, v18, v55
	ds_read_b32 v8, v20 offset:5796
	ds_read_b32 v75, v20
	v_add_f32_e32 v9, v9, v73
	v_fmamk_f32 v46, v5, 0x3f5db3d7, v95
	v_fmac_f32_e32 v95, 0xbf5db3d7, v5
	v_add_f32_e32 v47, v102, v0
	v_add_f32_e32 v5, v0, v40
	;; [unrolled: 1-line block ×3, first 2 shown]
	ds_read_b32 v85, v22
	ds_read_b32 v84, v21
	;; [unrolled: 1-line block ×6, first 2 shown]
	s_waitcnt lgkmcnt(0)
	; wave barrier
	s_waitcnt lgkmcnt(0)
	ds_write2_b32 v20, v9, v10 offset1:72
	v_add_f32_e32 v9, v104, v12
	v_fmac_f32_e32 v102, -0.5, v5
	v_sub_f32_e32 v5, v17, v56
	v_add_f32_e32 v52, v37, v63
	v_add_f32_e32 v10, v12, v66
	;; [unrolled: 1-line block ×7, first 2 shown]
	v_mov_b32_e32 v9, 0x360
	v_fmamk_f32 v48, v5, 0x3f5db3d7, v102
	v_fmac_f32_e32 v102, 0xbf5db3d7, v5
	v_mul_f32_e32 v5, v106, v99
	v_fmac_f32_e32 v103, -0.5, v52
	v_sub_f32_e32 v52, v62, v67
	v_fmac_f32_e32 v104, -0.5, v10
	v_sub_f32_e32 v10, v13, v70
	v_cndmask_b32_e64 v9, 0, v9, s[0:1]
	v_fmac_f32_e32 v3, v4, v96
	v_mul_f32_e32 v4, v4, v97
	v_fmac_f32_e32 v5, v8, v98
	v_mul_f32_e32 v8, v8, v99
	v_fmamk_f32 v53, v52, 0x3f5db3d7, v103
	v_fmac_f32_e32 v103, 0xbf5db3d7, v52
	v_fmamk_f32 v52, v10, 0x3f5db3d7, v104
	v_fmac_f32_e32 v104, 0xbf5db3d7, v10
	v_add_f32_e32 v10, v11, v54
	v_add3_u32 v86, 0, v9, v7
	v_fma_f32 v8, v106, v98, -v8
	ds_write_b32 v20, v105 offset:576
	ds_write2_b32 v86, v10, v31 offset1:72
	v_pk_add_f32 v[10:11], v[2:3], v[4:5] neg_lo:[0,1] neg_hi:[0,1]
	v_mov_b32_e32 v7, 0x3f5db3d7
	v_add_f32_e32 v2, v10, v8
	v_mov_b32_e32 v9, v6
	v_fmac_f32_e32 v9, -0.5, v2
	v_pk_add_f32 v[30:31], v[6:7], v[10:11]
	v_pk_mul_f32 v[6:7], v[6:7], v[10:11]
	v_mul_u32_u24_e32 v2, 0x360, v51
	v_lshlrev_b32_sdwa v4, v77, v60 dst_sel:DWORD dst_unused:UNUSED_PAD src0_sel:DWORD src1_sel:BYTE_0
	v_add3_u32 v2, 0, v2, v4
	v_mul_u32_u24_e32 v4, 0x360, v76
	v_lshlrev_b32_sdwa v6, v77, v107 dst_sel:DWORD dst_unused:UNUSED_PAD src0_sel:DWORD src1_sel:BYTE_0
	v_mov_b32_e32 v31, v7
	v_add_f32_e32 v28, v7, v9
	v_add3_u32 v4, 0, v4, v6
	v_mul_u32_u24_e32 v6, 0x360, v39
	v_lshlrev_b32_e32 v7, 2, v108
	ds_write_b32 v86, v92 offset:576
	ds_write2_b32 v2, v26, v44 offset1:72
	v_pk_add_f32 v[26:27], v[8:9], v[30:31]
	v_pk_add_f32 v[30:31], v[8:9], v[30:31] neg_lo:[0,1] neg_hi:[0,1]
	v_add3_u32 v6, 0, v6, v7
	v_mul_u32_u24_e32 v7, 0x360, v109
	v_lshlrev_b32_e32 v9, 2, v110
	v_add3_u32 v7, 0, v7, v9
	v_mul_u32_u24_e32 v9, 0x360, v111
	v_lshlrev_b32_e32 v11, 2, v112
	v_add3_u32 v9, 0, v9, v11
	v_lshl_add_u32 v11, v113, 2, 0
	v_add_u32_e32 v27, 0x1400, v11
	ds_write_b32 v2, v93 offset:576
	ds_write2_b32 v4, v42, v46 offset1:72
	ds_write_b32 v4, v95 offset:576
	ds_write2_b32 v6, v45, v48 offset1:72
	;; [unrolled: 2-line block ×4, first 2 shown]
	ds_write_b32 v9, v104 offset:576
	ds_write2_b32 v27, v26, v28 offset0:16 offset1:88
	ds_write_b32 v11, v31 offset:5760
	v_add_u32_e32 v27, 0x400, v20
	s_waitcnt lgkmcnt(0)
	; wave barrier
	s_waitcnt lgkmcnt(0)
	ds_read2_b32 v[88:89], v20 offset1:216
	ds_read2_b32 v[76:77], v27 offset0:176 offset1:239
	ds_read2_b32 v[48:49], v38 offset0:46 offset1:136
	;; [unrolled: 1-line block ×8, first 2 shown]
	ds_read_b32 v60, v22
	ds_read_b32 v42, v21
	ds_read_b32 v51, v20 offset:5688
	v_sub_u32_e32 v27, 0, v29
	v_cmp_gt_u32_e64 s[0:1], 27, v100
	s_and_saveexec_b64 s[6:7], s[2:3]
	s_xor_b64 s[6:7], exec, s[6:7]
                                        ; implicit-def: $vgpr38_vgpr39
; %bb.14:
	v_mov_b32_e32 v39, v31
; %bb.15:
	s_or_saveexec_b64 s[6:7], s[6:7]
	v_add_u32_e32 v23, v23, v27
                                        ; implicit-def: $vgpr32
                                        ; implicit-def: $vgpr34
	s_xor_b64 exec, exec, s[6:7]
	s_cbranch_execz .LBB0_17
; %bb.16:
	v_add_u32_e32 v27, 0x600, v20
	ds_read2_b32 v[28:29], v27 offset0:21 offset1:237
	v_add_u32_e32 v27, 0xd00, v20
	ds_read2_b32 v[34:35], v27 offset0:5 offset1:221
	v_add_u32_e32 v27, 0x1380, v20
	ds_read_b32 v26, v23
	ds_read2_b32 v[32:33], v27 offset0:21 offset1:237
	s_waitcnt lgkmcnt(3)
	v_mov_b32_e32 v39, v29
	v_mov_b32_e32 v31, v29
.LBB0_17:
	s_or_b64 exec, exec, s[6:7]
	v_add_f32_e32 v29, v72, v79
	v_add_f32_e32 v27, v75, v72
	v_fmac_f32_e32 v75, -0.5, v29
	v_sub_f32_e32 v29, v71, v73
	v_add_f32_e32 v36, v50, v61
	v_fmamk_f32 v30, v29, 0xbf5db3d7, v75
	v_fmac_f32_e32 v75, 0x3f5db3d7, v29
	v_add_f32_e32 v29, v85, v50
	v_fmac_f32_e32 v85, -0.5, v36
	v_sub_f32_e32 v16, v16, v54
	v_add_f32_e32 v36, v41, v57
	v_fmamk_f32 v38, v16, 0xbf5db3d7, v85
	v_fmac_f32_e32 v85, 0x3f5db3d7, v16
	v_add_f32_e32 v16, v84, v41
	v_fmac_f32_e32 v84, -0.5, v36
	v_sub_f32_e32 v15, v15, v43
	v_fmamk_f32 v41, v15, 0xbf5db3d7, v84
	v_fmac_f32_e32 v84, 0x3f5db3d7, v15
	v_add_f32_e32 v15, v83, v18
	v_add_f32_e32 v18, v18, v55
	v_fmac_f32_e32 v83, -0.5, v18
	v_sub_f32_e32 v14, v14, v19
	v_fmamk_f32 v18, v14, 0xbf5db3d7, v83
	v_fmac_f32_e32 v83, 0x3f5db3d7, v14
	v_add_f32_e32 v14, v82, v17
	;; [unrolled: 6-line block ×3, first 2 shown]
	v_add_f32_e32 v19, v0, v67
	v_add_f32_e32 v0, v62, v67
	v_fmac_f32_e32 v81, -0.5, v0
	v_sub_f32_e32 v0, v37, v63
	v_fmamk_f32 v43, v0, 0xbf5db3d7, v81
	v_fmac_f32_e32 v81, 0x3f5db3d7, v0
	v_add_f32_e32 v0, v80, v13
	v_add_f32_e32 v50, v0, v70
	;; [unrolled: 1-line block ×3, first 2 shown]
	v_fmac_f32_e32 v80, -0.5, v0
	v_sub_f32_e32 v0, v12, v66
	v_fmamk_f32 v54, v0, 0xbf5db3d7, v80
	v_fmac_f32_e32 v80, 0x3f5db3d7, v0
	v_add_f32_e32 v0, v1, v3
	v_add_f32_e32 v3, v3, v5
	v_fmac_f32_e32 v1, -0.5, v3
	v_sub_f32_e32 v3, v10, v8
	v_mul_f32_e32 v13, 0x3f5db3d7, v3
	v_mov_b32_e32 v40, v1
	v_mov_b32_e32 v12, v5
	v_add_f32_e32 v27, v27, v79
	v_fmac_f32_e32 v40, 0xbf5db3d7, v3
	v_pk_add_f32 v[36:37], v[0:1], v[12:13]
	v_add_u32_e32 v0, 0x1400, v11
	v_add_u32_e32 v1, 0x800, v20
	v_add_f32_e32 v29, v29, v61
	v_add_f32_e32 v16, v16, v57
	;; [unrolled: 1-line block ×4, first 2 shown]
	s_waitcnt lgkmcnt(0)
	; wave barrier
	s_waitcnt lgkmcnt(0)
	ds_write2_b32 v20, v27, v30 offset1:72
	ds_write_b32 v20, v75 offset:576
	ds_write2_b32 v86, v29, v38 offset1:72
	ds_write_b32 v86, v85 offset:576
	;; [unrolled: 2-line block ×7, first 2 shown]
	ds_write2_b32 v0, v36, v40 offset0:16 offset1:88
	ds_write_b32 v11, v37 offset:5760
	s_waitcnt lgkmcnt(0)
	; wave barrier
	s_waitcnt lgkmcnt(0)
	ds_read2_b32 v[70:71], v1 offset0:46 offset1:136
	v_add_u32_e32 v1, 0xc00, v20
	ds_read2_b32 v[82:83], v1 offset0:96 offset1:159
	v_add_u32_e32 v1, 0xe00, v20
	v_add_u32_e32 v0, 0x400, v20
	ds_read2_b32 v[62:63], v1 offset0:94 offset1:184
	v_add_u32_e32 v1, 0x1400, v20
	ds_read2_b32 v[90:91], v20 offset1:216
	ds_read2_b32 v[86:87], v0 offset0:176 offset1:239
	ds_read2_b32 v[84:85], v1 offset0:16 offset1:79
	;; [unrolled: 1-line block ×3, first 2 shown]
	v_add_u32_e32 v0, 0xa00, v20
	ds_read2_b32 v[72:73], v0 offset0:71 offset1:134
	v_add_u32_e32 v0, 0x1000, v20
	ds_read2_b32 v[80:81], v0 offset0:119 offset1:182
	ds_read_b32 v61, v22
	ds_read_b32 v43, v21
	ds_read_b32 v75, v20 offset:5688
	s_and_saveexec_b64 s[6:7], s[2:3]
	s_xor_b64 s[2:3], exec, s[6:7]
                                        ; implicit-def: $vgpr55
                                        ; implicit-def: $vgpr57
; %bb.18:
                                        ; implicit-def: $vgpr23
                                        ; implicit-def: $vgpr20
; %bb.19:
	s_or_saveexec_b64 s[2:3], s[2:3]
                                        ; implicit-def: $vgpr56
                                        ; implicit-def: $vgpr54
	s_xor_b64 exec, exec, s[2:3]
	s_cbranch_execz .LBB0_21
; %bb.20:
	v_add_u32_e32 v0, 0x600, v20
	ds_read2_b32 v[40:41], v0 offset0:21 offset1:237
	v_add_u32_e32 v0, 0xd00, v20
	ds_read2_b32 v[54:55], v0 offset0:5 offset1:221
	v_add_u32_e32 v0, 0x1380, v20
	ds_read_b32 v36, v23
	ds_read2_b32 v[56:57], v0 offset0:21 offset1:237
	s_waitcnt lgkmcnt(3)
	v_mov_b32_e32 v37, v41
	s_or_b64 exec, exec, s[2:3]
	s_and_saveexec_b64 s[2:3], vcc
	s_cbranch_execz .LBB0_24
	s_branch .LBB0_22
.LBB0_21:
	s_or_b64 exec, exec, s[2:3]
	s_and_saveexec_b64 s[2:3], vcc
	s_cbranch_execz .LBB0_24
.LBB0_22:
	v_mul_u32_u24_e32 v0, 6, v100
	v_lshlrev_b32_e32 v0, 3, v0
	global_load_dwordx4 v[16:19], v0, s[4:5] offset:1712
	global_load_dwordx4 v[102:105], v0, s[4:5] offset:1744
	global_load_dwordx4 v[20:23], v0, s[4:5] offset:1728
	v_mul_i32_i24_e32 v78, 6, v78
	v_mov_b32_e32 v79, 0
	v_add_u32_e32 v41, 0x288, v100
	v_mad_u64_u32 v[92:93], s[2:3], s8, v100, 0
	v_add_u32_e32 v27, 0xd8, v100
	v_add_u32_e32 v115, 0x360, v100
	v_lshl_add_u64 v[8:9], v[78:79], 3, s[4:5]
	v_mul_i32_i24_e32 v78, 6, v94
	v_mad_u64_u32 v[98:99], s[2:3], s8, v41, 0
	v_add_u32_e32 v29, 0x1b0, v100
	v_mov_b32_e32 v10, v93
	v_mad_u64_u32 v[94:95], s[2:3], s8, v27, 0
	v_mad_u64_u32 v[96:97], s[2:3], s8, v115, 0
	v_lshl_add_u64 v[118:119], v[78:79], 3, s[4:5]
	v_mov_b32_e32 v78, v99
	v_mad_u64_u32 v[116:117], s[2:3], s8, v29, 0
	v_mad_u64_u32 v[120:121], s[2:3], s9, v100, v[10:11]
	v_mov_b32_e32 v38, v95
	v_mov_b32_e32 v122, v97
	v_mad_u64_u32 v[126:127], s[2:3], s9, v41, v[78:79]
	s_waitcnt lgkmcnt(9)
	v_mov_b32_e32 v108, v63
	v_mov_b32_e32 v109, v71
	s_waitcnt lgkmcnt(7)
	v_mov_b32_e32 v112, v86
	v_mov_b32_e32 v113, v82
	;; [unrolled: 1-line block ×4, first 2 shown]
	v_mad_u64_u32 v[120:121], s[2:3], s9, v27, v[38:39]
	v_mad_u64_u32 v[122:123], s[2:3], s9, v115, v[122:123]
	v_mov_b32_e32 v99, v126
	v_mov_b32_e32 v30, v45
	;; [unrolled: 1-line block ×5, first 2 shown]
	v_mad_u64_u32 v[124:125], s[2:3], s9, v29, v[50:51]
	v_mov_b32_e32 v95, v120
	v_mov_b32_e32 v97, v122
	s_waitcnt lgkmcnt(6)
	v_mov_b32_e32 v115, v84
	v_mov_b32_e32 v117, v124
	;; [unrolled: 1-line block ×4, first 2 shown]
	global_load_dwordx4 v[0:3], v[8:9], off offset:1712
	global_load_dwordx4 v[4:7], v[8:9], off offset:1728
	;; [unrolled: 1-line block ×3, first 2 shown]
	s_mov_b32 s2, 0x3f4a47b2
	global_load_dwordx4 v[8:11], v[8:9], off offset:1744
	s_mov_b32 s20, 0x3f955555
	s_mov_b32 s12, 0x3eae86e6
	;; [unrolled: 1-line block ×9, first 2 shown]
	v_add_u32_e32 v41, 0x438, v100
	s_mov_b32 s18, 0x3f5ff5aa
	v_lshl_add_u64 v[98:99], v[98:99], 3, v[24:25]
	v_lshl_add_u64 v[96:97], v[96:97], 3, v[24:25]
	v_mov_b32_e32 v71, v62
	v_mov_b32_e32 v50, v53
	s_waitcnt vmcnt(6)
	v_mov_b32_e32 v128, v19
	s_waitcnt vmcnt(5)
	;; [unrolled: 2-line block ×3, first 2 shown]
	v_mov_b32_e32 v127, v20
	v_mov_b32_e32 v129, v22
	v_mul_f32_e32 v29, v84, v105
	v_mul_f32_e32 v120, v45, v103
	v_mul_f32_e32 v122, v76, v19
	v_mov_b32_e32 v131, v104
	v_mov_b32_e32 v132, v18
	v_mov_b32_e32 v133, v23
	v_pk_mul_f32 v[108:109], v[108:109], v[126:127]
	v_pk_mul_f32 v[112:113], v[112:113], v[128:129]
	v_mov_b32_e32 v130, v21
	v_mov_b32_e32 v124, v102
	v_fma_f32 v127, v68, v104, -v29
	v_fmac_f32_e32 v120, v63, v102
	v_fmac_f32_e32 v122, v86, v18
	v_pk_fma_f32 v[102:103], v[30:31], v[102:103], v[108:109] neg_lo:[0,0,1] neg_hi:[0,0,1]
	v_pk_fma_f32 v[110:111], v[110:111], v[132:133], v[112:113]
	v_pk_fma_f32 v[18:19], v[76:77], v[18:19], v[112:113] neg_lo:[0,0,1] neg_hi:[0,0,1]
	v_pk_mul_f32 v[112:113], v[114:115], v[130:131]
	v_mov_b32_e32 v114, v49
	v_mov_b32_e32 v115, v68
	;; [unrolled: 1-line block ×4, first 2 shown]
	v_mul_f32_e32 v27, v91, v17
	v_pk_fma_f32 v[104:105], v[114:115], v[104:105], v[112:113]
	v_pk_fma_f32 v[112:113], v[30:31], v[20:21], v[112:113] neg_lo:[0,0,1] neg_hi:[0,0,1]
	v_mov_b32_e32 v20, v22
	v_mov_b32_e32 v22, v23
	;; [unrolled: 1-line block ×6, first 2 shown]
	v_fma_f32 v129, v89, v16, -v27
	v_mov_b32_e32 v21, v17
	v_mov_b32_e32 v16, v64
	;; [unrolled: 1-line block ×3, first 2 shown]
	v_pk_mul_f32 v[22:23], v[130:131], v[22:23]
	v_pk_fma_f32 v[106:107], v[106:107], v[124:125], v[108:109]
	v_pk_fma_f32 v[130:131], v[16:17], v[20:21], v[22:23] neg_lo:[0,0,1] neg_hi:[0,0,1]
	v_pk_fma_f32 v[132:133], v[16:17], v[20:21], v[22:23]
	v_mov_b32_e32 v103, v107
	v_mov_b32_e32 v19, v111
	;; [unrolled: 1-line block ×4, first 2 shown]
	v_add_f32_e32 v109, v122, v120
	v_add_f32_e32 v124, v129, v127
	v_pk_add_f32 v[114:115], v[18:19], v[102:103] neg_lo:[0,1] neg_hi:[0,1]
	v_pk_add_f32 v[134:135], v[130:131], v[112:113]
	v_pk_add_f32 v[102:103], v[18:19], v[102:103]
	v_add_f32_e32 v17, v135, v109
	v_add_f32_e32 v18, v124, v102
	v_mov_b32_e32 v19, v103
	v_mov_b32_e32 v16, v134
	v_pk_add_f32 v[136:137], v[18:19], v[16:17]
	global_load_dwordx4 v[16:19], v[118:119], off offset:1728
	global_load_dwordx4 v[20:23], v[118:119], off offset:1744
	v_mov_b32_e32 v89, v90
	v_mov_b32_e32 v123, v130
	v_lshl_add_u64 v[90:91], v[92:93], 3, v[24:25]
	v_lshl_add_u64 v[92:93], v[94:95], 3, v[24:25]
	v_mov_b32_e32 v94, v105
	v_mov_b32_e32 v95, v112
	;; [unrolled: 1-line block ×6, first 2 shown]
	v_pk_add_f32 v[112:113], v[122:123], v[120:121] neg_lo:[0,1] neg_hi:[0,1]
	v_pk_add_f32 v[120:121], v[30:31], v[94:95] neg_lo:[0,1] neg_hi:[0,1]
	;; [unrolled: 1-line block ×3, first 2 shown]
	v_mov_b32_e32 v125, v103
	v_mov_b32_e32 v108, v134
	v_mov_b32_e32 v27, v114
	v_pk_add_f32 v[88:89], v[88:89], v[136:137]
	v_mov_b32_e32 v110, v120
	v_mov_b32_e32 v111, v113
	;; [unrolled: 1-line block ×4, first 2 shown]
	v_pk_add_f32 v[104:105], v[124:125], v[108:109] neg_lo:[0,1] neg_hi:[0,1]
	v_pk_add_f32 v[94:95], v[112:113], v[26:27]
	v_pk_fma_f32 v[122:123], v[136:137], s[20:21], v[88:89] op_sel_hi:[1,0,1] neg_lo:[1,0,0] neg_hi:[1,0,0]
	v_pk_add_f32 v[110:111], v[110:111], v[126:127] neg_lo:[0,1] neg_hi:[0,1]
	global_store_dwordx2 v[90:91], v[88:89], off
	v_pk_add_f32 v[88:89], v[106:107], v[112:113]
	v_pk_mul_f32 v[104:105], v[104:105], s[2:3]
	v_pk_add_f32 v[118:119], v[134:135], v[102:103] neg_lo:[0,1] neg_hi:[0,1]
	v_mov_b32_e32 v121, v95
	v_pk_mul_f32 v[110:111], v[110:111], s[12:13]
	v_pk_add_f32 v[126:127], v[106:107], v[112:113] neg_lo:[0,1] neg_hi:[0,1]
	v_mov_b32_e32 v89, v107
	v_pk_fma_f32 v[94:95], v[118:119], s[6:7], v[104:105]
	v_pk_fma_f32 v[128:129], v[126:127], s[14:15], v[110:111]
	v_pk_add_f32 v[130:131], v[88:89], v[120:121]
	v_pk_add_f32 v[94:95], v[94:95], v[122:123]
	v_pk_fma_f32 v[88:89], v[130:131], s[10:11], v[128:129] op_sel_hi:[1,0,1]
	v_mad_u64_u32 v[132:133], s[16:17], s8, v41, 0
	v_pk_add_f32 v[128:129], v[94:95], v[88:89] neg_lo:[0,1] neg_hi:[0,1]
	v_pk_add_f32 v[94:95], v[94:95], v[88:89]
	v_mov_b32_e32 v89, v129
	v_mov_b32_e32 v88, v94
	v_mov_b32_e32 v30, v133
	global_store_dwordx2 v[92:93], v[88:89], off
	v_mad_u64_u32 v[88:89], s[16:17], s9, v41, v[30:31]
	v_mov_b32_e32 v103, v109
	v_mov_b32_e32 v125, v135
	v_lshl_add_u64 v[108:109], v[116:117], 3, v[24:25]
	v_pk_mul_f32 v[116:117], v[118:119], s[6:7]
	v_pk_mul_f32 v[118:119], v[126:127], s[14:15]
	v_mov_b32_e32 v113, v114
	v_mov_b32_e32 v121, v107
	v_pk_add_f32 v[102:103], v[102:103], v[124:125] neg_lo:[0,1] neg_hi:[0,1]
	v_mov_b32_e32 v114, v104
	v_mov_b32_e32 v115, v117
	s_mov_b32 s16, 0x3f3bfb3b
	v_pk_add_f32 v[106:107], v[112:113], v[120:121] neg_lo:[0,1] neg_hi:[0,1]
	v_mov_b32_e32 v112, v110
	v_mov_b32_e32 v113, v119
	v_pk_fma_f32 v[114:115], v[102:103], s[16:17], v[114:115] op_sel_hi:[1,0,1] neg_lo:[1,0,1] neg_hi:[1,0,1]
	v_pk_fma_f32 v[112:113], v[106:107], s[18:19], v[112:113] op_sel_hi:[1,0,1] neg_lo:[1,0,1] neg_hi:[1,0,1]
	v_pk_add_f32 v[114:115], v[114:115], v[122:123]
	v_pk_fma_f32 v[112:113], v[130:131], s[10:11], v[112:113] op_sel_hi:[1,0,1]
	v_mov_b32_e32 v119, v111
	v_mov_b32_e32 v117, v105
	v_pk_add_f32 v[120:121], v[114:115], v[112:113] neg_lo:[0,1] neg_hi:[0,1]
	v_pk_add_f32 v[112:113], v[114:115], v[112:113]
	v_pk_fma_f32 v[106:107], v[106:107], s[18:19], v[118:119] op_sel_hi:[1,0,1] neg_lo:[0,0,1] neg_hi:[0,0,1]
	v_pk_fma_f32 v[102:103], v[102:103], s[16:17], v[116:117] op_sel_hi:[1,0,1] neg_lo:[0,0,1] neg_hi:[0,0,1]
	v_add_u32_e32 v27, 0x510, v100
	v_mov_b32_e32 v114, v112
	v_mov_b32_e32 v115, v121
	v_pk_fma_f32 v[106:107], v[130:131], s[10:11], v[106:107] op_sel_hi:[1,0,1]
	v_pk_add_f32 v[102:103], v[102:103], v[122:123]
	global_store_dwordx2 v[108:109], v[114:115], off
	v_mad_u64_u32 v[108:109], s[22:23], s8, v27, 0
	v_pk_add_f32 v[122:123], v[102:103], v[106:107]
	v_pk_add_f32 v[102:103], v[102:103], v[106:107] neg_lo:[0,1] neg_hi:[0,1]
	v_mov_b32_e32 v30, v109
	v_mov_b32_e32 v106, v102
	;; [unrolled: 1-line block ×4, first 2 shown]
	v_mad_u64_u32 v[114:115], s[22:23], s9, v27, v[30:31]
	s_waitcnt vmcnt(6) lgkmcnt(5)
	v_mul_f32_e32 v27, v66, v13
	global_store_dwordx2 v[98:99], v[106:107], off
	global_store_dwordx2 v[96:97], v[122:123], off
	v_mad_u64_u32 v[96:97], s[22:23], s8, v74, 0
	v_fma_f32 v115, v46, v12, -v27
	s_waitcnt vmcnt(5)
	v_mul_f32_e32 v27, v85, v23
	v_mov_b32_e32 v30, v97
	v_fma_f32 v111, v69, v22, -v27
	v_mad_u64_u32 v[98:99], s[22:23], s9, v74, v[30:31]
	v_add_u32_e32 v27, 0x117, v100
	v_mov_b32_e32 v97, v98
	v_mad_u64_u32 v[98:99], s[22:23], s8, v27, 0
	v_mov_b32_e32 v30, v99
	v_mad_u64_u32 v[102:103], s[22:23], s9, v27, v[30:31]
	v_add_u32_e32 v27, 0x1ef, v100
	v_mov_b32_e32 v99, v102
	v_mad_u64_u32 v[102:103], s[22:23], s8, v27, 0
	v_mov_b32_e32 v30, v103
	v_mad_u64_u32 v[106:107], s[22:23], s9, v27, v[30:31]
	v_add_u32_e32 v27, 0x2c7, v100
	v_mov_b32_e32 v133, v88
	v_mov_b32_e32 v109, v114
	;; [unrolled: 1-line block ×3, first 2 shown]
	v_mad_u64_u32 v[106:107], s[22:23], s8, v27, 0
	v_lshl_add_u64 v[124:125], v[132:133], 3, v[24:25]
	v_lshl_add_u64 v[108:109], v[108:109], 3, v[24:25]
	v_mov_b32_e32 v121, v113
	v_mov_b32_e32 v129, v95
	;; [unrolled: 1-line block ×3, first 2 shown]
	global_store_dwordx2 v[124:125], v[120:121], off
	global_store_dwordx2 v[108:109], v[128:129], off
	v_mad_u64_u32 v[108:109], s[22:23], s9, v27, v[30:31]
	v_add_u32_e32 v27, 0x39f, v100
	v_mov_b32_e32 v107, v108
	v_mad_u64_u32 v[108:109], s[22:23], s8, v27, 0
	v_mov_b32_e32 v30, v109
	v_mad_u64_u32 v[120:121], s[22:23], s9, v27, v[30:31]
	v_add_u32_e32 v27, 0x477, v100
	v_mov_b32_e32 v109, v120
	v_mad_u64_u32 v[120:121], s[22:23], s8, v27, 0
	v_mov_b32_e32 v30, v121
	;; [unrolled: 5-line block ×3, first 2 shown]
	v_mad_u64_u32 v[124:125], s[22:23], s9, v27, v[30:31]
	s_waitcnt lgkmcnt(3)
	v_mov_b32_e32 v128, v80
	v_mov_b32_e32 v129, v72
	;; [unrolled: 1-line block ×4, first 2 shown]
	v_mul_f32_e32 v104, v58, v21
	v_mov_b32_e32 v123, v124
	v_mov_b32_e32 v124, v58
	;; [unrolled: 1-line block ×5, first 2 shown]
	v_pk_mul_f32 v[128:129], v[128:129], v[130:131]
	v_mov_b32_e32 v84, v72
	v_mov_b32_e32 v132, v17
	;; [unrolled: 1-line block ×3, first 2 shown]
	v_fmac_f32_e32 v104, v80, v20
	v_pk_fma_f32 v[20:21], v[58:59], v[20:21], v[128:129] neg_lo:[0,0,1] neg_hi:[0,0,1]
	v_pk_fma_f32 v[124:125], v[124:125], v[126:127], v[128:129]
	v_mov_b32_e32 v82, v87
	v_mov_b32_e32 v128, v15
	;; [unrolled: 1-line block ×6, first 2 shown]
	v_pk_mul_f32 v[22:23], v[84:85], v[132:133]
	v_mul_f32_e32 v112, v77, v15
	v_mov_b32_e32 v30, v77
	v_mov_b32_e32 v64, v77
	v_mov_b32_e32 v126, v14
	v_mov_b32_e32 v127, v19
	v_pk_mul_f32 v[128:129], v[82:83], v[128:129]
	v_pk_fma_f32 v[16:17], v[52:53], v[16:17], v[22:23] neg_lo:[0,0,1] neg_hi:[0,0,1]
	v_pk_fma_f32 v[22:23], v[68:69], v[130:131], v[22:23]
	v_mov_b32_e32 v68, v18
	v_mov_b32_e32 v82, v83
	;; [unrolled: 1-line block ×5, first 2 shown]
	v_fmac_f32_e32 v112, v87, v14
	v_pk_fma_f32 v[14:15], v[30:31], v[14:15], v[128:129] neg_lo:[0,0,1] neg_hi:[0,0,1]
	v_pk_fma_f32 v[126:127], v[64:65], v[126:127], v[128:129]
	v_mov_b32_e32 v64, v65
	v_mov_b32_e32 v65, v46
	;; [unrolled: 1-line block ×3, first 2 shown]
	v_pk_mul_f32 v[12:13], v[82:83], v[18:19]
	v_mov_b32_e32 v21, v125
	v_mov_b32_e32 v15, v127
	v_pk_fma_f32 v[18:19], v[64:65], v[68:69], v[12:13] neg_lo:[0,0,1] neg_hi:[0,0,1]
	v_pk_fma_f32 v[12:13], v[64:65], v[68:69], v[12:13]
	v_pk_add_f32 v[128:129], v[14:15], v[20:21] neg_lo:[0,1] neg_hi:[0,1]
	v_mov_b32_e32 v17, v23
	v_mov_b32_e32 v19, v13
	;; [unrolled: 1-line block ×4, first 2 shown]
	v_pk_add_f32 v[64:65], v[18:19], v[16:17]
	v_mov_b32_e32 v18, v23
	v_mov_b32_e32 v19, v16
	v_pk_add_f32 v[16:17], v[112:113], v[104:105] neg_lo:[0,1] neg_hi:[0,1]
	v_mov_b32_e32 v12, v13
	v_mov_b32_e32 v13, v128
	v_pk_add_f32 v[18:19], v[12:13], v[18:19] neg_lo:[0,1] neg_hi:[0,1]
	v_pk_add_f32 v[12:13], v[16:17], v[12:13]
	v_mov_b32_e32 v114, v127
	v_mov_b32_e32 v110, v125
	v_add_f32_e32 v119, v112, v104
	v_add_f32_e32 v116, v115, v111
	v_pk_add_f32 v[14:15], v[14:15], v[20:21]
	v_mov_b32_e32 v19, v13
	v_pk_add_f32 v[12:13], v[114:115], v[110:111] neg_lo:[0,1] neg_hi:[0,1]
	v_add_f32_e32 v69, v65, v119
	v_mov_b32_e32 v117, v15
	v_mov_b32_e32 v118, v64
	v_add_f32_e32 v130, v116, v14
	v_mov_b32_e32 v131, v15
	v_mov_b32_e32 v68, v64
	;; [unrolled: 1-line block ×6, first 2 shown]
	v_pk_add_f32 v[20:21], v[116:117], v[118:119] neg_lo:[0,1] neg_hi:[0,1]
	v_pk_add_f32 v[68:69], v[130:131], v[68:69]
	v_pk_add_f32 v[22:23], v[22:23], v[104:105] neg_lo:[0,1] neg_hi:[0,1]
	v_pk_add_f32 v[112:113], v[12:13], v[16:17]
	v_pk_mul_f32 v[20:21], v[20:21], s[2:3]
	v_pk_add_f32 v[82:83], v[64:65], v[14:15] neg_lo:[0,1] neg_hi:[0,1]
	s_waitcnt lgkmcnt(2)
	v_pk_add_f32 v[60:61], v[60:61], v[68:69]
	v_pk_mul_f32 v[22:23], v[22:23], s[12:13]
	v_pk_add_f32 v[104:105], v[12:13], v[16:17] neg_lo:[0,1] neg_hi:[0,1]
	v_mov_b32_e32 v113, v13
	s_movk_i32 s11, 0x510
	v_pk_mul_f32 v[84:85], v[82:83], s[6:7]
	v_pk_fma_f32 v[82:83], v[82:83], s[6:7], v[20:21]
	v_pk_fma_f32 v[68:69], v[68:69], s[20:21], v[60:61] op_sel_hi:[1,0,1] neg_lo:[1,0,0] neg_hi:[1,0,0]
	v_pk_mul_f32 v[110:111], v[104:105], s[14:15]
	v_pk_fma_f32 v[104:105], v[104:105], s[14:15], v[22:23]
	v_pk_add_f32 v[112:113], v[112:113], v[18:19]
	v_pk_add_f32 v[82:83], v[82:83], v[68:69]
	v_pk_fma_f32 v[104:105], v[112:113], s[10:11], v[104:105] op_sel_hi:[1,0,1]
	v_lshl_add_u64 v[96:97], v[96:97], 3, v[24:25]
	v_pk_add_f32 v[114:115], v[82:83], v[104:105] neg_lo:[0,1] neg_hi:[0,1]
	v_pk_add_f32 v[82:83], v[82:83], v[104:105]
	v_lshl_add_u64 v[98:99], v[98:99], 3, v[24:25]
	global_store_dwordx2 v[96:97], v[60:61], off
	v_mov_b32_e32 v60, v82
	v_mov_b32_e32 v61, v115
	;; [unrolled: 1-line block ×6, first 2 shown]
	global_store_dwordx2 v[98:99], v[60:61], off
	v_mov_b32_e32 v60, v20
	v_mov_b32_e32 v61, v85
	v_pk_add_f32 v[14:15], v[14:15], v[116:117] neg_lo:[0,1] neg_hi:[0,1]
	v_pk_add_f32 v[12:13], v[16:17], v[18:19] neg_lo:[0,1] neg_hi:[0,1]
	v_mov_b32_e32 v16, v22
	v_mov_b32_e32 v17, v111
	;; [unrolled: 1-line block ×4, first 2 shown]
	v_pk_fma_f32 v[60:61], v[14:15], s[16:17], v[60:61] op_sel_hi:[1,0,1] neg_lo:[1,0,1] neg_hi:[1,0,1]
	v_pk_fma_f32 v[16:17], v[12:13], s[18:19], v[16:17] op_sel_hi:[1,0,1] neg_lo:[1,0,1] neg_hi:[1,0,1]
	v_pk_fma_f32 v[12:13], v[12:13], s[18:19], v[110:111] op_sel_hi:[1,0,1] neg_lo:[0,0,1] neg_hi:[0,0,1]
	v_pk_fma_f32 v[14:15], v[14:15], s[16:17], v[84:85] op_sel_hi:[1,0,1] neg_lo:[0,0,1] neg_hi:[0,0,1]
	v_pk_fma_f32 v[12:13], v[112:113], s[10:11], v[12:13] op_sel_hi:[1,0,1]
	v_pk_add_f32 v[14:15], v[14:15], v[68:69]
	s_mov_b32 s17, 0x97b425f
	v_pk_add_f32 v[20:21], v[14:15], v[12:13]
	v_pk_add_f32 v[12:13], v[14:15], v[12:13] neg_lo:[0,1] neg_hi:[0,1]
	v_mov_b32_e32 v15, v21
	v_mov_b32_e32 v14, v12
	v_add_u32_e32 v12, 0x7e, v100
	v_mov_b32_e32 v21, v13
	v_lshrrev_b32_e32 v13, 3, v12
	v_pk_add_f32 v[60:61], v[60:61], v[68:69]
	v_pk_fma_f32 v[16:17], v[112:113], s[10:11], v[16:17] op_sel_hi:[1,0,1]
	v_mul_hi_u32 v13, v13, s17
	v_pk_add_f32 v[18:19], v[60:61], v[16:17] neg_lo:[0,1] neg_hi:[0,1]
	v_pk_add_f32 v[16:17], v[60:61], v[16:17]
	v_mad_u32_u24 v27, v13, s11, v12
	v_lshl_add_u64 v[102:103], v[102:103], 3, v[24:25]
	v_lshl_add_u64 v[106:107], v[106:107], 3, v[24:25]
	v_mov_b32_e32 v60, v16
	v_mov_b32_e32 v61, v19
	v_mad_u64_u32 v[12:13], s[22:23], s8, v27, 0
	global_store_dwordx2 v[102:103], v[60:61], off
	global_store_dwordx2 v[106:107], v[14:15], off
	v_mov_b32_e32 v14, v13
	v_mov_b32_e32 v19, v17
	v_mad_u64_u32 v[14:15], s[22:23], s9, v27, v[14:15]
	v_add_u32_e32 v17, 0xd8, v27
	v_mov_b32_e32 v13, v14
	v_mad_u64_u32 v[14:15], s[22:23], s8, v17, 0
	v_lshl_add_u64 v[108:109], v[108:109], 3, v[24:25]
	v_lshl_add_u64 v[120:121], v[120:121], 3, v[24:25]
	v_mov_b32_e32 v16, v15
	global_store_dwordx2 v[108:109], v[20:21], off
	global_store_dwordx2 v[120:121], v[18:19], off
	v_mad_u64_u32 v[16:17], s[22:23], s9, v17, v[16:17]
	v_add_u32_e32 v19, 0x1b0, v27
	v_mov_b32_e32 v15, v16
	v_mad_u64_u32 v[16:17], s[22:23], s8, v19, 0
	v_mov_b32_e32 v18, v17
	v_mad_u64_u32 v[18:19], s[22:23], s9, v19, v[18:19]
	v_add_u32_e32 v21, 0x288, v27
	v_mov_b32_e32 v17, v18
	v_mad_u64_u32 v[18:19], s[22:23], s8, v21, 0
	v_mov_b32_e32 v20, v19
	v_mad_u64_u32 v[20:21], s[22:23], s9, v21, v[20:21]
	v_add_u32_e32 v23, 0x360, v27
	v_mov_b32_e32 v19, v20
	v_mad_u64_u32 v[20:21], s[22:23], s8, v23, 0
	v_mul_f32_e32 v29, v67, v1
	v_mov_b32_e32 v22, v21
	v_fma_f32 v91, v47, v0, -v29
	v_mad_u64_u32 v[22:23], s[22:23], s9, v23, v[22:23]
	v_add_u32_e32 v29, 0x438, v27
	v_mov_b32_e32 v21, v22
	v_mad_u64_u32 v[22:23], s[22:23], s8, v29, 0
	v_mov_b32_e32 v30, v23
	v_mad_u64_u32 v[60:61], s[22:23], s9, v29, v[30:31]
	v_add_u32_e32 v27, 0x510, v27
	v_mov_b32_e32 v23, v60
	v_mad_u64_u32 v[60:61], s[22:23], s8, v27, 0
	v_mov_b32_e32 v30, v61
	v_mad_u64_u32 v[64:65], s[22:23], s9, v27, v[30:31]
	v_mov_b32_e32 v61, v64
	v_mov_b32_e32 v72, v81
	;; [unrolled: 1-line block ×4, first 2 shown]
	v_mul_f32_e32 v76, v59, v9
	v_mov_b32_e32 v30, v59
	v_mov_b32_e32 v52, v59
	;; [unrolled: 1-line block ×4, first 2 shown]
	v_pk_mul_f32 v[64:65], v[72:73], v[64:65]
	v_mov_b32_e32 v68, v3
	v_mov_b32_e32 v69, v6
	v_fmac_f32_e32 v76, v81, v8
	v_mul_f32_e32 v94, v48, v3
	v_pk_fma_f32 v[8:9], v[30:31], v[8:9], v[64:65] neg_lo:[0,0,1] neg_hi:[0,0,1]
	v_pk_fma_f32 v[58:59], v[52:53], v[58:59], v[64:65]
	v_mov_b32_e32 v49, v44
	v_mov_b32_e32 v64, v2
	;; [unrolled: 1-line block ×3, first 2 shown]
	v_pk_mul_f32 v[68:69], v[70:71], v[68:69]
	s_waitcnt lgkmcnt(0)
	v_mul_f32_e32 v38, v75, v11
	v_fmac_f32_e32 v94, v70, v2
	v_pk_fma_f32 v[2:3], v[48:49], v[2:3], v[68:69] neg_lo:[0,0,1] neg_hi:[0,0,1]
	v_pk_fma_f32 v[48:49], v[48:49], v[64:65], v[68:69]
	v_mov_b32_e32 v74, v73
	v_mov_b32_e32 v68, v5
	;; [unrolled: 1-line block ×7, first 2 shown]
	v_fma_f32 v93, v51, v10, -v38
	v_mov_b32_e32 v30, v53
	v_mov_b32_e32 v52, v4
	;; [unrolled: 1-line block ×3, first 2 shown]
	v_pk_mul_f32 v[10:11], v[74:75], v[68:69]
	v_mov_b32_e32 v45, v47
	v_mov_b32_e32 v47, v1
	v_pk_mul_f32 v[0:1], v[62:63], v[6:7]
	v_mov_b32_e32 v9, v59
	v_mov_b32_e32 v3, v49
	v_pk_fma_f32 v[4:5], v[30:31], v[4:5], v[10:11] neg_lo:[0,0,1] neg_hi:[0,0,1]
	v_pk_fma_f32 v[10:11], v[50:51], v[52:53], v[10:11]
	v_pk_fma_f32 v[6:7], v[44:45], v[46:47], v[0:1] neg_lo:[0,0,1] neg_hi:[0,0,1]
	v_pk_fma_f32 v[0:1], v[44:45], v[46:47], v[0:1]
	v_pk_add_f32 v[64:65], v[2:3], v[8:9] neg_lo:[0,1] neg_hi:[0,1]
	v_mov_b32_e32 v5, v11
	v_mov_b32_e32 v7, v1
	;; [unrolled: 1-line block ×4, first 2 shown]
	v_pk_add_f32 v[44:45], v[6:7], v[4:5]
	v_mov_b32_e32 v6, v11
	v_mov_b32_e32 v7, v4
	v_pk_add_f32 v[4:5], v[94:95], v[76:77] neg_lo:[0,1] neg_hi:[0,1]
	v_mov_b32_e32 v0, v1
	v_mov_b32_e32 v1, v64
	v_pk_add_f32 v[6:7], v[0:1], v[6:7] neg_lo:[0,1] neg_hi:[0,1]
	v_pk_add_f32 v[0:1], v[4:5], v[0:1]
	v_mov_b32_e32 v90, v49
	v_mov_b32_e32 v92, v59
	v_add_f32_e32 v89, v94, v76
	v_add_f32_e32 v86, v91, v93
	v_pk_add_f32 v[2:3], v[2:3], v[8:9]
	v_mov_b32_e32 v7, v1
	v_pk_add_f32 v[0:1], v[90:91], v[92:93] neg_lo:[0,1] neg_hi:[0,1]
	v_add_f32_e32 v47, v45, v89
	v_mov_b32_e32 v87, v3
	v_mov_b32_e32 v88, v44
	v_add_f32_e32 v62, v86, v2
	v_mov_b32_e32 v63, v3
	v_mov_b32_e32 v46, v44
	;; [unrolled: 1-line block ×6, first 2 shown]
	v_pk_add_f32 v[8:9], v[86:87], v[88:89] neg_lo:[0,1] neg_hi:[0,1]
	v_pk_add_f32 v[46:47], v[62:63], v[46:47]
	v_pk_add_f32 v[10:11], v[10:11], v[48:49] neg_lo:[0,1] neg_hi:[0,1]
	v_pk_add_f32 v[62:63], v[0:1], v[4:5]
	v_pk_mul_f32 v[8:9], v[8:9], s[2:3]
	v_pk_add_f32 v[50:51], v[44:45], v[2:3] neg_lo:[0,1] neg_hi:[0,1]
	v_pk_add_f32 v[42:43], v[42:43], v[46:47]
	v_pk_mul_f32 v[10:11], v[10:11], s[12:13]
	v_pk_add_f32 v[48:49], v[0:1], v[4:5] neg_lo:[0,1] neg_hi:[0,1]
	v_mov_b32_e32 v63, v1
	v_pk_mul_f32 v[52:53], v[50:51], s[6:7]
	v_pk_fma_f32 v[50:51], v[50:51], s[6:7], v[8:9]
	v_pk_fma_f32 v[46:47], v[46:47], s[20:21], v[42:43] op_sel_hi:[1,0,1] neg_lo:[1,0,0] neg_hi:[1,0,0]
	v_pk_mul_f32 v[58:59], v[48:49], s[14:15]
	v_pk_fma_f32 v[48:49], v[48:49], s[14:15], v[10:11]
	v_pk_add_f32 v[62:63], v[62:63], v[6:7]
	v_pk_add_f32 v[50:51], v[50:51], v[46:47]
	v_pk_fma_f32 v[48:49], v[62:63], s[10:11], v[48:49] op_sel_hi:[1,0,1]
	v_lshl_add_u64 v[122:123], v[122:123], 3, v[24:25]
	v_mov_b32_e32 v115, v83
	v_lshl_add_u64 v[12:13], v[12:13], 3, v[24:25]
	v_pk_add_f32 v[66:67], v[50:51], v[48:49] neg_lo:[0,1] neg_hi:[0,1]
	v_pk_add_f32 v[48:49], v[50:51], v[48:49]
	global_store_dwordx2 v[122:123], v[114:115], off
	v_lshl_add_u64 v[14:15], v[14:15], 3, v[24:25]
	global_store_dwordx2 v[12:13], v[42:43], off
	v_mov_b32_e32 v12, v48
	v_mov_b32_e32 v13, v67
	;; [unrolled: 1-line block ×6, first 2 shown]
	global_store_dwordx2 v[14:15], v[12:13], off
	v_mov_b32_e32 v12, v8
	v_mov_b32_e32 v13, v53
	v_pk_add_f32 v[2:3], v[2:3], v[86:87] neg_lo:[0,1] neg_hi:[0,1]
	v_pk_add_f32 v[0:1], v[4:5], v[6:7] neg_lo:[0,1] neg_hi:[0,1]
	v_mov_b32_e32 v4, v10
	v_mov_b32_e32 v5, v59
	v_mov_b32_e32 v59, v11
	v_mov_b32_e32 v53, v9
	v_pk_fma_f32 v[12:13], v[2:3], s[16:17], v[12:13] op_sel_hi:[1,0,1] neg_lo:[1,0,1] neg_hi:[1,0,1]
	v_pk_fma_f32 v[4:5], v[0:1], s[18:19], v[4:5] op_sel_hi:[1,0,1] neg_lo:[1,0,1] neg_hi:[1,0,1]
	;; [unrolled: 1-line block ×4, first 2 shown]
	v_pk_add_f32 v[12:13], v[12:13], v[46:47]
	v_pk_fma_f32 v[4:5], v[62:63], s[10:11], v[4:5] op_sel_hi:[1,0,1]
	v_pk_fma_f32 v[0:1], v[62:63], s[10:11], v[0:1] op_sel_hi:[1,0,1]
	v_pk_add_f32 v[2:3], v[2:3], v[46:47]
	v_pk_add_f32 v[6:7], v[12:13], v[4:5] neg_lo:[0,1] neg_hi:[0,1]
	v_pk_add_f32 v[4:5], v[12:13], v[4:5]
	v_pk_add_f32 v[8:9], v[2:3], v[0:1]
	v_pk_add_f32 v[0:1], v[2:3], v[0:1] neg_lo:[0,1] neg_hi:[0,1]
	v_lshl_add_u64 v[16:17], v[16:17], 3, v[24:25]
	v_lshl_add_u64 v[18:19], v[18:19], 3, v[24:25]
	;; [unrolled: 1-line block ×5, first 2 shown]
	v_mov_b32_e32 v12, v4
	v_mov_b32_e32 v13, v7
	v_mov_b32_e32 v2, v0
	v_mov_b32_e32 v3, v9
	v_mov_b32_e32 v9, v1
	v_mov_b32_e32 v7, v5
	v_mov_b32_e32 v67, v49
	global_store_dwordx2 v[16:17], v[12:13], off
	global_store_dwordx2 v[18:19], v[2:3], off
	;; [unrolled: 1-line block ×5, first 2 shown]
	s_and_b64 exec, exec, s[0:1]
	s_cbranch_execz .LBB0_24
; %bb.23:
	v_subrev_u32_e32 v0, 27, v100
	v_cndmask_b32_e64 v0, v0, v101, s[0:1]
	v_mul_i32_i24_e32 v78, 6, v0
	v_lshl_add_u64 v[12:13], v[78:79], 3, s[4:5]
	global_load_dwordx4 v[0:3], v[12:13], off offset:1712
	global_load_dwordx4 v[4:7], v[12:13], off offset:1728
	;; [unrolled: 1-line block ×3, first 2 shown]
	v_mov_b32_e32 v14, v57
	v_mov_b32_e32 v15, v55
	;; [unrolled: 1-line block ×16, first 2 shown]
	s_mov_b32 s0, 0xbf955555
	s_waitcnt vmcnt(2)
	v_mov_b32_e32 v38, v3
	s_waitcnt vmcnt(1)
	v_mov_b32_e32 v39, v4
	v_mov_b32_e32 v42, v7
	s_waitcnt vmcnt(0)
	v_mov_b32_e32 v43, v8
	v_mul_f32_e32 v23, v56, v9
	v_mul_f32_e32 v44, v33, v11
	v_mov_b32_e32 v50, v1
	v_mov_b32_e32 v51, v4
	;; [unrolled: 1-line block ×4, first 2 shown]
	v_mul_f32_e32 v30, v28, v1
	v_mov_b32_e32 v46, v5
	v_mov_b32_e32 v48, v5
	;; [unrolled: 1-line block ×6, first 2 shown]
	v_fmac_f32_e32 v44, v57, v10
	v_pk_mul_f32 v[10:11], v[16:17], v[38:39]
	v_pk_mul_f32 v[16:17], v[40:41], v[50:51]
	v_fma_f32 v23, v32, v8, -v23
	v_pk_mul_f32 v[20:21], v[20:21], v[42:43]
	v_mov_b32_e32 v8, v6
	v_pk_mul_f32 v[14:15], v[14:15], v[52:53]
	v_mul_f32_e32 v3, v37, v3
	v_fmac_f32_e32 v30, v40, v0
	v_pk_fma_f32 v[38:39], v[54:55], v[46:47], v[10:11] op_sel:[0,0,1] op_sel_hi:[1,1,0] neg_lo:[1,0,0] neg_hi:[1,0,0]
	v_pk_fma_f32 v[10:11], v[18:19], v[48:49], v[10:11] op_sel:[0,0,1] op_sel_hi:[1,1,0]
	v_pk_fma_f32 v[18:19], v[28:29], v[0:1], v[16:17] neg_lo:[0,0,1] neg_hi:[0,0,1]
	v_pk_fma_f32 v[0:1], v[28:29], v[0:1], v[16:17]
	v_pk_fma_f32 v[6:7], v[22:23], v[6:7], v[20:21] op_sel_hi:[0,1,1] neg_lo:[0,0,1] neg_hi:[0,0,1]
	v_pk_fma_f32 v[8:9], v[34:35], v[8:9], v[20:21]
	v_pk_fma_f32 v[16:17], v[12:13], v[4:5], v[14:15] neg_lo:[0,0,1] neg_hi:[0,0,1]
	v_pk_fma_f32 v[4:5], v[12:13], v[4:5], v[14:15]
	v_fma_f32 v3, v31, v2, -v3
	v_mov_b32_e32 v39, v11
	v_mov_b32_e32 v19, v1
	;; [unrolled: 1-line block ×12, first 2 shown]
	v_add_f32_e32 v33, v30, v44
	v_add_f32_e32 v0, v3, v23
	v_pk_add_f32 v[10:11], v[30:31], v[44:45] neg_lo:[0,1] neg_hi:[0,1]
	v_pk_add_f32 v[2:3], v[2:3], v[22:23] neg_lo:[0,1] neg_hi:[0,1]
	v_pk_add_f32 v[6:7], v[38:39], v[6:7]
	v_pk_add_f32 v[12:13], v[18:19], v[16:17]
	v_pk_add_f32 v[4:5], v[4:5], v[8:9] neg_lo:[0,1] neg_hi:[0,1]
	v_add_f32_e32 v8, v0, v12
	v_add_f32_e32 v15, v7, v33
	v_mov_b32_e32 v32, v6
	v_mov_b32_e32 v1, v13
	v_pk_add_f32 v[18:19], v[4:5], v[2:3]
	v_mov_b32_e32 v20, v4
	v_mov_b32_e32 v21, v11
	;; [unrolled: 1-line block ×9, first 2 shown]
	v_pk_add_f32 v[16:17], v[12:13], v[6:7] neg_lo:[0,1] neg_hi:[0,1]
	v_pk_add_f32 v[30:31], v[32:33], v[0:1] neg_lo:[0,1] neg_hi:[0,1]
	v_pk_add_f32 v[20:21], v[20:21], v[22:23] neg_lo:[0,1] neg_hi:[0,1]
	v_pk_add_f32 v[4:5], v[28:29], v[4:5] neg_lo:[0,1] neg_hi:[0,1]
	v_pk_add_f32 v[8:9], v[8:9], v[14:15]
	v_pk_add_f32 v[14:15], v[18:19], v[10:11]
	;; [unrolled: 1-line block ×3, first 2 shown]
	v_pk_mul_f32 v[22:23], v[30:31], s[6:7]
	v_pk_mul_f32 v[26:27], v[16:17], s[2:3]
	;; [unrolled: 1-line block ×4, first 2 shown]
	v_mov_b32_e32 v1, v7
	v_mov_b32_e32 v13, v33
	v_pk_fma_f32 v[16:17], v[16:17], s[2:3], v[22:23]
	v_pk_fma_f32 v[4:5], v[4:5], s[12:13], v[20:21]
	v_pk_add_f32 v[0:1], v[0:1], v[12:13] neg_lo:[0,1] neg_hi:[0,1]
	v_pk_add_f32 v[2:3], v[2:3], v[10:11] neg_lo:[0,1] neg_hi:[0,1]
	v_mov_b32_e32 v6, v26
	v_mov_b32_e32 v7, v23
	;; [unrolled: 1-line block ×6, first 2 shown]
	v_pk_fma_f32 v[8:9], v[8:9], s[0:1], v[18:19] op_sel_hi:[1,0,1]
	v_pk_fma_f32 v[6:7], v[0:1], s[16:17], v[6:7] op_sel_hi:[1,0,1] neg_lo:[1,0,1] neg_hi:[1,0,1]
	v_pk_fma_f32 v[10:11], v[2:3], s[18:19], v[10:11] op_sel_hi:[1,0,1] neg_lo:[1,0,1] neg_hi:[1,0,1]
	;; [unrolled: 1-line block ×4, first 2 shown]
	v_pk_add_f32 v[16:17], v[16:17], v[8:9]
	v_pk_fma_f32 v[4:5], v[14:15], s[10:11], v[4:5] op_sel_hi:[1,0,1]
	v_pk_add_f32 v[6:7], v[6:7], v[8:9]
	v_pk_add_f32 v[0:1], v[0:1], v[8:9]
	v_pk_fma_f32 v[2:3], v[14:15], s[10:11], v[2:3] op_sel_hi:[1,0,1]
	v_pk_fma_f32 v[8:9], v[14:15], s[10:11], v[10:11] op_sel_hi:[1,0,1]
	v_add_u32_e32 v15, 0xbd, v100
	v_pk_add_f32 v[12:13], v[6:7], v[8:9]
	v_pk_add_f32 v[6:7], v[6:7], v[8:9] neg_lo:[0,1] neg_hi:[0,1]
	v_pk_add_f32 v[8:9], v[0:1], v[2:3] neg_lo:[0,1] neg_hi:[0,1]
	v_pk_add_f32 v[0:1], v[0:1], v[2:3]
	v_mad_u64_u32 v[2:3], s[0:1], s8, v15, 0
	v_mov_b32_e32 v14, v3
	v_mad_u64_u32 v[14:15], s[0:1], s9, v15, v[14:15]
	v_mov_b32_e32 v3, v14
	v_lshl_add_u64 v[2:3], v[2:3], 3, v[24:25]
	v_add_u32_e32 v15, 0x195, v100
	global_store_dwordx2 v[2:3], v[18:19], off
	v_mad_u64_u32 v[2:3], s[0:1], s8, v15, 0
	v_mov_b32_e32 v14, v3
	v_mad_u64_u32 v[14:15], s[0:1], s9, v15, v[14:15]
	v_pk_add_f32 v[10:11], v[16:17], v[4:5]
	v_pk_add_f32 v[4:5], v[16:17], v[4:5] neg_lo:[0,1] neg_hi:[0,1]
	v_mov_b32_e32 v3, v14
	v_lshl_add_u64 v[2:3], v[2:3], 3, v[24:25]
	v_mov_b32_e32 v14, v10
	v_mov_b32_e32 v15, v5
	v_add_u32_e32 v5, 0x26d, v100
	global_store_dwordx2 v[2:3], v[14:15], off
	v_mad_u64_u32 v[2:3], s[0:1], s8, v5, 0
	v_mov_b32_e32 v10, v3
	v_mad_u64_u32 v[14:15], s[0:1], s9, v5, v[10:11]
	v_mov_b32_e32 v3, v14
	v_lshl_add_u64 v[2:3], v[2:3], 3, v[24:25]
	v_mov_b32_e32 v14, v12
	v_mov_b32_e32 v15, v7
	v_add_u32_e32 v5, 0x345, v100
	global_store_dwordx2 v[2:3], v[14:15], off
	v_mad_u64_u32 v[2:3], s[0:1], s8, v5, 0
	v_mov_b32_e32 v10, v3
	v_mad_u64_u32 v[14:15], s[0:1], s9, v5, v[10:11]
	;; [unrolled: 9-line block ×3, first 2 shown]
	v_mov_b32_e32 v3, v14
	v_lshl_add_u64 v[2:3], v[2:3], 3, v[24:25]
	v_mov_b32_e32 v1, v9
	global_store_dwordx2 v[2:3], v[0:1], off
	v_add_u32_e32 v3, 0x4f5, v100
	v_mad_u64_u32 v[0:1], s[0:1], s8, v3, 0
	v_mov_b32_e32 v2, v1
	v_mad_u64_u32 v[2:3], s[0:1], s9, v3, v[2:3]
	v_mov_b32_e32 v1, v2
	v_lshl_add_u64 v[0:1], v[0:1], 3, v[24:25]
	v_mov_b32_e32 v7, v13
	v_add_u32_e32 v3, 0x5cd, v100
	global_store_dwordx2 v[0:1], v[6:7], off
	v_mad_u64_u32 v[0:1], s[0:1], s8, v3, 0
	v_mov_b32_e32 v2, v1
	v_mad_u64_u32 v[2:3], s[0:1], s9, v3, v[2:3]
	v_mov_b32_e32 v1, v2
	v_lshl_add_u64 v[0:1], v[0:1], 3, v[24:25]
	v_mov_b32_e32 v5, v11
	global_store_dwordx2 v[0:1], v[4:5], off
	s_endpgm
.LBB0_24:
	s_endpgm
	.section	.rodata,"a",@progbits
	.p2align	6, 0x0
	.amdhsa_kernel fft_rtc_fwd_len1512_factors_2_2_2_3_3_3_7_wgs_63_tpt_63_halfLds_sp_ip_CI_sbrr_dirReg
		.amdhsa_group_segment_fixed_size 0
		.amdhsa_private_segment_fixed_size 0
		.amdhsa_kernarg_size 88
		.amdhsa_user_sgpr_count 2
		.amdhsa_user_sgpr_dispatch_ptr 0
		.amdhsa_user_sgpr_queue_ptr 0
		.amdhsa_user_sgpr_kernarg_segment_ptr 1
		.amdhsa_user_sgpr_dispatch_id 0
		.amdhsa_user_sgpr_kernarg_preload_length 0
		.amdhsa_user_sgpr_kernarg_preload_offset 0
		.amdhsa_user_sgpr_private_segment_size 0
		.amdhsa_uses_dynamic_stack 0
		.amdhsa_enable_private_segment 0
		.amdhsa_system_sgpr_workgroup_id_x 1
		.amdhsa_system_sgpr_workgroup_id_y 0
		.amdhsa_system_sgpr_workgroup_id_z 0
		.amdhsa_system_sgpr_workgroup_info 0
		.amdhsa_system_vgpr_workitem_id 0
		.amdhsa_next_free_vgpr 138
		.amdhsa_next_free_sgpr 24
		.amdhsa_accum_offset 140
		.amdhsa_reserve_vcc 1
		.amdhsa_float_round_mode_32 0
		.amdhsa_float_round_mode_16_64 0
		.amdhsa_float_denorm_mode_32 3
		.amdhsa_float_denorm_mode_16_64 3
		.amdhsa_dx10_clamp 1
		.amdhsa_ieee_mode 1
		.amdhsa_fp16_overflow 0
		.amdhsa_tg_split 0
		.amdhsa_exception_fp_ieee_invalid_op 0
		.amdhsa_exception_fp_denorm_src 0
		.amdhsa_exception_fp_ieee_div_zero 0
		.amdhsa_exception_fp_ieee_overflow 0
		.amdhsa_exception_fp_ieee_underflow 0
		.amdhsa_exception_fp_ieee_inexact 0
		.amdhsa_exception_int_div_zero 0
	.end_amdhsa_kernel
	.text
.Lfunc_end0:
	.size	fft_rtc_fwd_len1512_factors_2_2_2_3_3_3_7_wgs_63_tpt_63_halfLds_sp_ip_CI_sbrr_dirReg, .Lfunc_end0-fft_rtc_fwd_len1512_factors_2_2_2_3_3_3_7_wgs_63_tpt_63_halfLds_sp_ip_CI_sbrr_dirReg
                                        ; -- End function
	.section	.AMDGPU.csdata,"",@progbits
; Kernel info:
; codeLenInByte = 17288
; NumSgprs: 30
; NumVgprs: 138
; NumAgprs: 0
; TotalNumVgprs: 138
; ScratchSize: 0
; MemoryBound: 0
; FloatMode: 240
; IeeeMode: 1
; LDSByteSize: 0 bytes/workgroup (compile time only)
; SGPRBlocks: 3
; VGPRBlocks: 17
; NumSGPRsForWavesPerEU: 30
; NumVGPRsForWavesPerEU: 138
; AccumOffset: 140
; Occupancy: 3
; WaveLimiterHint : 1
; COMPUTE_PGM_RSRC2:SCRATCH_EN: 0
; COMPUTE_PGM_RSRC2:USER_SGPR: 2
; COMPUTE_PGM_RSRC2:TRAP_HANDLER: 0
; COMPUTE_PGM_RSRC2:TGID_X_EN: 1
; COMPUTE_PGM_RSRC2:TGID_Y_EN: 0
; COMPUTE_PGM_RSRC2:TGID_Z_EN: 0
; COMPUTE_PGM_RSRC2:TIDIG_COMP_CNT: 0
; COMPUTE_PGM_RSRC3_GFX90A:ACCUM_OFFSET: 34
; COMPUTE_PGM_RSRC3_GFX90A:TG_SPLIT: 0
	.text
	.p2alignl 6, 3212836864
	.fill 256, 4, 3212836864
	.type	__hip_cuid_d6a33403c34bd742,@object ; @__hip_cuid_d6a33403c34bd742
	.section	.bss,"aw",@nobits
	.globl	__hip_cuid_d6a33403c34bd742
__hip_cuid_d6a33403c34bd742:
	.byte	0                               ; 0x0
	.size	__hip_cuid_d6a33403c34bd742, 1

	.ident	"AMD clang version 19.0.0git (https://github.com/RadeonOpenCompute/llvm-project roc-6.4.0 25133 c7fe45cf4b819c5991fe208aaa96edf142730f1d)"
	.section	".note.GNU-stack","",@progbits
	.addrsig
	.addrsig_sym __hip_cuid_d6a33403c34bd742
	.amdgpu_metadata
---
amdhsa.kernels:
  - .agpr_count:     0
    .args:
      - .actual_access:  read_only
        .address_space:  global
        .offset:         0
        .size:           8
        .value_kind:     global_buffer
      - .offset:         8
        .size:           8
        .value_kind:     by_value
      - .actual_access:  read_only
        .address_space:  global
        .offset:         16
        .size:           8
        .value_kind:     global_buffer
      - .actual_access:  read_only
        .address_space:  global
        .offset:         24
        .size:           8
        .value_kind:     global_buffer
      - .offset:         32
        .size:           8
        .value_kind:     by_value
      - .actual_access:  read_only
        .address_space:  global
        .offset:         40
        .size:           8
        .value_kind:     global_buffer
      - .actual_access:  read_only
        .address_space:  global
        .offset:         48
        .size:           8
        .value_kind:     global_buffer
      - .offset:         56
        .size:           4
        .value_kind:     by_value
      - .actual_access:  read_only
        .address_space:  global
        .offset:         64
        .size:           8
        .value_kind:     global_buffer
      - .actual_access:  read_only
        .address_space:  global
        .offset:         72
        .size:           8
        .value_kind:     global_buffer
      - .address_space:  global
        .offset:         80
        .size:           8
        .value_kind:     global_buffer
    .group_segment_fixed_size: 0
    .kernarg_segment_align: 8
    .kernarg_segment_size: 88
    .language:       OpenCL C
    .language_version:
      - 2
      - 0
    .max_flat_workgroup_size: 63
    .name:           fft_rtc_fwd_len1512_factors_2_2_2_3_3_3_7_wgs_63_tpt_63_halfLds_sp_ip_CI_sbrr_dirReg
    .private_segment_fixed_size: 0
    .sgpr_count:     30
    .sgpr_spill_count: 0
    .symbol:         fft_rtc_fwd_len1512_factors_2_2_2_3_3_3_7_wgs_63_tpt_63_halfLds_sp_ip_CI_sbrr_dirReg.kd
    .uniform_work_group_size: 1
    .uses_dynamic_stack: false
    .vgpr_count:     138
    .vgpr_spill_count: 0
    .wavefront_size: 64
amdhsa.target:   amdgcn-amd-amdhsa--gfx950
amdhsa.version:
  - 1
  - 2
...

	.end_amdgpu_metadata
